;; amdgpu-corpus repo=ROCm/rocFFT kind=compiled arch=gfx1030 opt=O3
	.text
	.amdgcn_target "amdgcn-amd-amdhsa--gfx1030"
	.amdhsa_code_object_version 6
	.protected	fft_rtc_back_len4050_factors_10_5_3_3_3_3_wgs_135_tpt_135_halfLds_dp_ip_CI_unitstride_sbrr_C2R_dirReg ; -- Begin function fft_rtc_back_len4050_factors_10_5_3_3_3_3_wgs_135_tpt_135_halfLds_dp_ip_CI_unitstride_sbrr_C2R_dirReg
	.globl	fft_rtc_back_len4050_factors_10_5_3_3_3_3_wgs_135_tpt_135_halfLds_dp_ip_CI_unitstride_sbrr_C2R_dirReg
	.p2align	8
	.type	fft_rtc_back_len4050_factors_10_5_3_3_3_3_wgs_135_tpt_135_halfLds_dp_ip_CI_unitstride_sbrr_C2R_dirReg,@function
fft_rtc_back_len4050_factors_10_5_3_3_3_3_wgs_135_tpt_135_halfLds_dp_ip_CI_unitstride_sbrr_C2R_dirReg: ; @fft_rtc_back_len4050_factors_10_5_3_3_3_3_wgs_135_tpt_135_halfLds_dp_ip_CI_unitstride_sbrr_C2R_dirReg
; %bb.0:
	s_mov_b64 s[26:27], s[2:3]
	s_mov_b64 s[24:25], s[0:1]
	s_clause 0x2
	s_load_dwordx4 s[8:11], s[4:5], 0x0
	s_load_dwordx2 s[2:3], s[4:5], 0x50
	s_load_dwordx2 s[12:13], s[4:5], 0x18
	v_mul_u32_u24_e32 v1, 0x1e6, v0
	v_mov_b32_e32 v3, 0
	s_add_u32 s24, s24, s7
	s_addc_u32 s25, s25, 0
	v_add_nc_u32_sdwa v5, s6, v1 dst_sel:DWORD dst_unused:UNUSED_PAD src0_sel:DWORD src1_sel:WORD_1
	v_mov_b32_e32 v1, 0
	v_mov_b32_e32 v6, v3
	;; [unrolled: 1-line block ×3, first 2 shown]
	s_waitcnt lgkmcnt(0)
	v_cmp_lt_u64_e64 s0, s[10:11], 2
	s_and_b32 vcc_lo, exec_lo, s0
	s_cbranch_vccnz .LBB0_8
; %bb.1:
	s_load_dwordx2 s[0:1], s[4:5], 0x10
	v_mov_b32_e32 v1, 0
	s_add_u32 s6, s12, 8
	v_mov_b32_e32 v2, 0
	s_addc_u32 s7, s13, 0
	s_mov_b64 s[16:17], 1
	s_waitcnt lgkmcnt(0)
	s_add_u32 s14, s0, 8
	s_addc_u32 s15, s1, 0
.LBB0_2:                                ; =>This Inner Loop Header: Depth=1
	s_load_dwordx2 s[18:19], s[14:15], 0x0
                                        ; implicit-def: $vgpr7_vgpr8
	s_mov_b32 s0, exec_lo
	s_waitcnt lgkmcnt(0)
	v_or_b32_e32 v4, s19, v6
	v_cmpx_ne_u64_e32 0, v[3:4]
	s_xor_b32 s1, exec_lo, s0
	s_cbranch_execz .LBB0_4
; %bb.3:                                ;   in Loop: Header=BB0_2 Depth=1
	v_cvt_f32_u32_e32 v4, s18
	v_cvt_f32_u32_e32 v7, s19
	s_sub_u32 s0, 0, s18
	s_subb_u32 s20, 0, s19
	v_fmac_f32_e32 v4, 0x4f800000, v7
	v_rcp_f32_e32 v4, v4
	v_mul_f32_e32 v4, 0x5f7ffffc, v4
	v_mul_f32_e32 v7, 0x2f800000, v4
	v_trunc_f32_e32 v7, v7
	v_fmac_f32_e32 v4, 0xcf800000, v7
	v_cvt_u32_f32_e32 v7, v7
	v_cvt_u32_f32_e32 v4, v4
	v_mul_lo_u32 v8, s0, v7
	v_mul_hi_u32 v9, s0, v4
	v_mul_lo_u32 v10, s20, v4
	v_add_nc_u32_e32 v8, v9, v8
	v_mul_lo_u32 v9, s0, v4
	v_add_nc_u32_e32 v8, v8, v10
	v_mul_hi_u32 v10, v4, v9
	v_mul_lo_u32 v11, v4, v8
	v_mul_hi_u32 v12, v4, v8
	v_mul_hi_u32 v13, v7, v9
	v_mul_lo_u32 v9, v7, v9
	v_mul_hi_u32 v14, v7, v8
	v_mul_lo_u32 v8, v7, v8
	v_add_co_u32 v10, vcc_lo, v10, v11
	v_add_co_ci_u32_e32 v11, vcc_lo, 0, v12, vcc_lo
	v_add_co_u32 v9, vcc_lo, v10, v9
	v_add_co_ci_u32_e32 v9, vcc_lo, v11, v13, vcc_lo
	v_add_co_ci_u32_e32 v10, vcc_lo, 0, v14, vcc_lo
	v_add_co_u32 v8, vcc_lo, v9, v8
	v_add_co_ci_u32_e32 v9, vcc_lo, 0, v10, vcc_lo
	v_add_co_u32 v4, vcc_lo, v4, v8
	v_add_co_ci_u32_e32 v7, vcc_lo, v7, v9, vcc_lo
	v_mul_hi_u32 v8, s0, v4
	v_mul_lo_u32 v10, s20, v4
	v_mul_lo_u32 v9, s0, v7
	v_add_nc_u32_e32 v8, v8, v9
	v_mul_lo_u32 v9, s0, v4
	v_add_nc_u32_e32 v8, v8, v10
	v_mul_hi_u32 v10, v4, v9
	v_mul_lo_u32 v11, v4, v8
	v_mul_hi_u32 v12, v4, v8
	v_mul_hi_u32 v13, v7, v9
	v_mul_lo_u32 v9, v7, v9
	v_mul_hi_u32 v14, v7, v8
	v_mul_lo_u32 v8, v7, v8
	v_add_co_u32 v10, vcc_lo, v10, v11
	v_add_co_ci_u32_e32 v11, vcc_lo, 0, v12, vcc_lo
	v_add_co_u32 v9, vcc_lo, v10, v9
	v_add_co_ci_u32_e32 v9, vcc_lo, v11, v13, vcc_lo
	v_add_co_ci_u32_e32 v10, vcc_lo, 0, v14, vcc_lo
	v_add_co_u32 v8, vcc_lo, v9, v8
	v_add_co_ci_u32_e32 v9, vcc_lo, 0, v10, vcc_lo
	v_add_co_u32 v4, vcc_lo, v4, v8
	v_add_co_ci_u32_e32 v11, vcc_lo, v7, v9, vcc_lo
	v_mul_hi_u32 v13, v5, v4
	v_mad_u64_u32 v[9:10], null, v6, v4, 0
	v_mad_u64_u32 v[7:8], null, v5, v11, 0
	;; [unrolled: 1-line block ×3, first 2 shown]
	v_add_co_u32 v4, vcc_lo, v13, v7
	v_add_co_ci_u32_e32 v7, vcc_lo, 0, v8, vcc_lo
	v_add_co_u32 v4, vcc_lo, v4, v9
	v_add_co_ci_u32_e32 v4, vcc_lo, v7, v10, vcc_lo
	v_add_co_ci_u32_e32 v7, vcc_lo, 0, v12, vcc_lo
	v_add_co_u32 v4, vcc_lo, v4, v11
	v_add_co_ci_u32_e32 v9, vcc_lo, 0, v7, vcc_lo
	v_mul_lo_u32 v10, s19, v4
	v_mad_u64_u32 v[7:8], null, s18, v4, 0
	v_mul_lo_u32 v11, s18, v9
	v_sub_co_u32 v7, vcc_lo, v5, v7
	v_add3_u32 v8, v8, v11, v10
	v_sub_nc_u32_e32 v10, v6, v8
	v_subrev_co_ci_u32_e64 v10, s0, s19, v10, vcc_lo
	v_add_co_u32 v11, s0, v4, 2
	v_add_co_ci_u32_e64 v12, s0, 0, v9, s0
	v_sub_co_u32 v13, s0, v7, s18
	v_sub_co_ci_u32_e32 v8, vcc_lo, v6, v8, vcc_lo
	v_subrev_co_ci_u32_e64 v10, s0, 0, v10, s0
	v_cmp_le_u32_e32 vcc_lo, s18, v13
	v_cmp_eq_u32_e64 s0, s19, v8
	v_cndmask_b32_e64 v13, 0, -1, vcc_lo
	v_cmp_le_u32_e32 vcc_lo, s19, v10
	v_cndmask_b32_e64 v14, 0, -1, vcc_lo
	v_cmp_le_u32_e32 vcc_lo, s18, v7
	;; [unrolled: 2-line block ×3, first 2 shown]
	v_cndmask_b32_e64 v15, 0, -1, vcc_lo
	v_cmp_eq_u32_e32 vcc_lo, s19, v10
	v_cndmask_b32_e64 v7, v15, v7, s0
	v_cndmask_b32_e32 v10, v14, v13, vcc_lo
	v_add_co_u32 v13, vcc_lo, v4, 1
	v_add_co_ci_u32_e32 v14, vcc_lo, 0, v9, vcc_lo
	v_cmp_ne_u32_e32 vcc_lo, 0, v10
	v_cndmask_b32_e32 v8, v14, v12, vcc_lo
	v_cndmask_b32_e32 v10, v13, v11, vcc_lo
	v_cmp_ne_u32_e32 vcc_lo, 0, v7
	v_cndmask_b32_e32 v8, v9, v8, vcc_lo
	v_cndmask_b32_e32 v7, v4, v10, vcc_lo
.LBB0_4:                                ;   in Loop: Header=BB0_2 Depth=1
	s_andn2_saveexec_b32 s0, s1
	s_cbranch_execz .LBB0_6
; %bb.5:                                ;   in Loop: Header=BB0_2 Depth=1
	v_cvt_f32_u32_e32 v4, s18
	s_sub_i32 s1, 0, s18
	v_rcp_iflag_f32_e32 v4, v4
	v_mul_f32_e32 v4, 0x4f7ffffe, v4
	v_cvt_u32_f32_e32 v4, v4
	v_mul_lo_u32 v7, s1, v4
	v_mul_hi_u32 v7, v4, v7
	v_add_nc_u32_e32 v4, v4, v7
	v_mul_hi_u32 v4, v5, v4
	v_mul_lo_u32 v7, v4, s18
	v_add_nc_u32_e32 v8, 1, v4
	v_sub_nc_u32_e32 v7, v5, v7
	v_subrev_nc_u32_e32 v9, s18, v7
	v_cmp_le_u32_e32 vcc_lo, s18, v7
	v_cndmask_b32_e32 v7, v7, v9, vcc_lo
	v_cndmask_b32_e32 v4, v4, v8, vcc_lo
	v_cmp_le_u32_e32 vcc_lo, s18, v7
	v_add_nc_u32_e32 v8, 1, v4
	v_cndmask_b32_e32 v7, v4, v8, vcc_lo
	v_mov_b32_e32 v8, v3
.LBB0_6:                                ;   in Loop: Header=BB0_2 Depth=1
	s_or_b32 exec_lo, exec_lo, s0
	s_load_dwordx2 s[0:1], s[6:7], 0x0
	v_mul_lo_u32 v4, v8, s18
	v_mul_lo_u32 v11, v7, s19
	v_mad_u64_u32 v[9:10], null, v7, s18, 0
	s_add_u32 s16, s16, 1
	s_addc_u32 s17, s17, 0
	s_add_u32 s6, s6, 8
	s_addc_u32 s7, s7, 0
	;; [unrolled: 2-line block ×3, first 2 shown]
	v_add3_u32 v4, v10, v11, v4
	v_sub_co_u32 v5, vcc_lo, v5, v9
	v_sub_co_ci_u32_e32 v4, vcc_lo, v6, v4, vcc_lo
	s_waitcnt lgkmcnt(0)
	v_mul_lo_u32 v6, s1, v5
	v_mul_lo_u32 v4, s0, v4
	v_mad_u64_u32 v[1:2], null, s0, v5, v[1:2]
	v_cmp_ge_u64_e64 s0, s[16:17], s[10:11]
	s_and_b32 vcc_lo, exec_lo, s0
	v_add3_u32 v2, v6, v2, v4
	s_cbranch_vccnz .LBB0_9
; %bb.7:                                ;   in Loop: Header=BB0_2 Depth=1
	v_mov_b32_e32 v5, v7
	v_mov_b32_e32 v6, v8
	s_branch .LBB0_2
.LBB0_8:
	v_mov_b32_e32 v8, v6
	v_mov_b32_e32 v7, v5
.LBB0_9:
	s_lshl_b64 s[0:1], s[10:11], 3
	v_mul_hi_u32 v5, 0x1e573ad, v0
	s_add_u32 s0, s12, s0
	s_addc_u32 s1, s13, s1
	s_load_dwordx2 s[0:1], s[0:1], 0x0
	s_load_dwordx2 s[4:5], s[4:5], 0x20
	s_waitcnt lgkmcnt(0)
	v_mul_lo_u32 v3, s0, v8
	v_mul_lo_u32 v4, s1, v7
	v_mad_u64_u32 v[1:2], null, s0, v7, v[1:2]
	v_cmp_gt_u64_e32 vcc_lo, s[4:5], v[7:8]
	v_add3_u32 v2, v4, v2, v3
	v_mul_u32_u24_e32 v3, 0x87, v5
	v_lshlrev_b64 v[1:2], 4, v[1:2]
	v_sub_nc_u32_e32 v123, v0, v3
	buffer_store_dword v1, off, s[24:27], 0 offset:32 ; 4-byte Folded Spill
	buffer_store_dword v2, off, s[24:27], 0 offset:36 ; 4-byte Folded Spill
	s_and_saveexec_b32 s1, vcc_lo
	s_cbranch_execz .LBB0_13
; %bb.10:
	s_clause 0x1
	buffer_load_dword v0, off, s[24:27], 0 offset:32
	buffer_load_dword v1, off, s[24:27], 0 offset:36
	v_mov_b32_e32 v124, 0
	v_lshl_add_u32 v122, v123, 4, 0
	v_lshlrev_b64 v[2:3], 4, v[123:124]
	s_waitcnt vmcnt(1)
	v_add_co_u32 v0, s0, s2, v0
	s_waitcnt vmcnt(0)
	v_add_co_ci_u32_e64 v1, s0, s3, v1, s0
	v_add_co_u32 v66, s0, v0, v2
	v_add_co_ci_u32_e64 v67, s0, v1, v3, s0
	v_add_co_u32 v6, s0, 0x800, v66
	v_add_co_ci_u32_e64 v7, s0, 0, v67, s0
	v_add_co_u32 v10, s0, 0x1000, v66
	v_add_co_ci_u32_e64 v11, s0, 0, v67, s0
	v_add_co_u32 v14, s0, 0x1800, v66
	v_add_co_ci_u32_e64 v15, s0, 0, v67, s0
	v_add_co_u32 v18, s0, 0x2000, v66
	v_add_co_ci_u32_e64 v19, s0, 0, v67, s0
	v_add_co_u32 v22, s0, 0x2800, v66
	v_add_co_ci_u32_e64 v23, s0, 0, v67, s0
	v_add_co_u32 v26, s0, 0x3000, v66
	v_add_co_ci_u32_e64 v27, s0, 0, v67, s0
	v_add_co_u32 v30, s0, 0x3800, v66
	v_add_co_ci_u32_e64 v31, s0, 0, v67, s0
	v_add_co_u32 v34, s0, 0x4000, v66
	v_add_co_ci_u32_e64 v35, s0, 0, v67, s0
	v_add_co_u32 v38, s0, 0x4800, v66
	v_add_co_ci_u32_e64 v39, s0, 0, v67, s0
	v_add_co_u32 v42, s0, 0x5000, v66
	v_add_co_ci_u32_e64 v43, s0, 0, v67, s0
	v_add_co_u32 v46, s0, 0x5800, v66
	v_add_co_ci_u32_e64 v47, s0, 0, v67, s0
	v_add_co_u32 v50, s0, 0x6000, v66
	v_add_co_ci_u32_e64 v51, s0, 0, v67, s0
	v_add_co_u32 v54, s0, 0x6800, v66
	v_add_co_ci_u32_e64 v55, s0, 0, v67, s0
	v_add_co_u32 v58, s0, 0x7000, v66
	v_add_co_ci_u32_e64 v59, s0, 0, v67, s0
	v_add_co_u32 v62, s0, 0x7800, v66
	v_add_co_ci_u32_e64 v63, s0, 0, v67, s0
	v_add_co_u32 v68, s0, 0x8000, v66
	v_add_co_ci_u32_e64 v69, s0, 0, v67, s0
	v_add_co_u32 v70, s0, 0x8800, v66
	v_add_co_ci_u32_e64 v71, s0, 0, v67, s0
	v_add_co_u32 v74, s0, 0x9000, v66
	v_add_co_ci_u32_e64 v75, s0, 0, v67, s0
	v_add_co_u32 v78, s0, 0xa000, v66
	v_add_co_ci_u32_e64 v79, s0, 0, v67, s0
	v_add_co_u32 v82, s0, 0xa800, v66
	v_add_co_ci_u32_e64 v83, s0, 0, v67, s0
	v_add_co_u32 v86, s0, 0xb000, v66
	v_add_co_ci_u32_e64 v87, s0, 0, v67, s0
	v_add_co_u32 v90, s0, 0xb800, v66
	v_add_co_ci_u32_e64 v91, s0, 0, v67, s0
	v_add_co_u32 v94, s0, 0xc000, v66
	v_add_co_ci_u32_e64 v95, s0, 0, v67, s0
	v_add_co_u32 v98, s0, 0xc800, v66
	v_add_co_ci_u32_e64 v99, s0, 0, v67, s0
	v_add_co_u32 v102, s0, 0xd000, v66
	v_add_co_ci_u32_e64 v103, s0, 0, v67, s0
	v_add_co_u32 v106, s0, 0xd800, v66
	v_add_co_ci_u32_e64 v107, s0, 0, v67, s0
	v_add_co_u32 v110, s0, 0xe000, v66
	v_add_co_ci_u32_e64 v111, s0, 0, v67, s0
	v_add_co_u32 v114, s0, 0xe800, v66
	v_add_co_ci_u32_e64 v115, s0, 0, v67, s0
	v_add_co_u32 v118, s0, 0xf000, v66
	v_add_co_ci_u32_e64 v119, s0, 0, v67, s0
	s_clause 0x1d
	global_load_dwordx4 v[2:5], v[66:67], off
	global_load_dwordx4 v[6:9], v[6:7], off offset:112
	global_load_dwordx4 v[10:13], v[10:11], off offset:224
	;; [unrolled: 1-line block ×29, first 2 shown]
	v_cmp_eq_u32_e64 s0, 0x86, v123
	s_waitcnt vmcnt(29)
	ds_write_b128 v122, v[2:5]
	s_waitcnt vmcnt(28)
	ds_write_b128 v122, v[6:9] offset:2160
	s_waitcnt vmcnt(27)
	ds_write_b128 v122, v[10:13] offset:4320
	;; [unrolled: 2-line block ×29, first 2 shown]
	s_and_saveexec_b32 s4, s0
	s_cbranch_execz .LBB0_12
; %bb.11:
	v_add_co_u32 v0, s0, 0xf800, v0
	v_add_co_ci_u32_e64 v1, s0, 0, v1, s0
	v_mov_b32_e32 v123, 0x86
	global_load_dwordx4 v[0:3], v[0:1], off offset:1312
	s_waitcnt vmcnt(0)
	ds_write_b128 v124, v[0:3] offset:64800
.LBB0_12:
	s_or_b32 exec_lo, exec_lo, s4
.LBB0_13:
	s_or_b32 exec_lo, exec_lo, s1
	v_lshlrev_b32_e32 v0, 4, v123
	s_waitcnt lgkmcnt(0)
	s_waitcnt_vscnt null, 0x0
	s_barrier
	buffer_gl0_inv
	s_add_u32 s1, s8, 0xfc80
	v_add_nc_u32_e32 v255, 0, v0
	v_sub_nc_u32_e32 v8, 0, v0
	s_addc_u32 s4, s9, 0
	s_mov_b32 s5, exec_lo
	ds_read_b64 v[4:5], v255
	ds_read_b64 v[6:7], v8 offset:64800
	s_waitcnt lgkmcnt(0)
	v_add_f64 v[0:1], v[4:5], v[6:7]
	v_add_f64 v[2:3], v[4:5], -v[6:7]
	v_cmpx_ne_u32_e32 0, v123
	s_xor_b32 s5, exec_lo, s5
	s_cbranch_execz .LBB0_15
; %bb.14:
	v_mov_b32_e32 v124, 0
	v_add_f64 v[13:14], v[4:5], v[6:7]
	v_add_f64 v[15:16], v[4:5], -v[6:7]
	v_lshlrev_b64 v[0:1], 4, v[123:124]
	v_add_co_u32 v0, s0, s1, v0
	v_add_co_ci_u32_e64 v1, s0, s4, v1, s0
	global_load_dwordx4 v[9:12], v[0:1], off
	ds_read_b64 v[0:1], v8 offset:64808
	ds_read_b64 v[2:3], v255 offset:8
	s_waitcnt lgkmcnt(0)
	v_add_f64 v[4:5], v[0:1], v[2:3]
	v_add_f64 v[0:1], v[2:3], -v[0:1]
	s_waitcnt vmcnt(0)
	v_fma_f64 v[2:3], v[15:16], v[11:12], v[13:14]
	v_fma_f64 v[6:7], -v[15:16], v[11:12], v[13:14]
	v_fma_f64 v[13:14], v[4:5], v[11:12], -v[0:1]
	v_fma_f64 v[11:12], v[4:5], v[11:12], v[0:1]
	v_fma_f64 v[0:1], -v[4:5], v[9:10], v[2:3]
	v_fma_f64 v[4:5], v[4:5], v[9:10], v[6:7]
	v_fma_f64 v[6:7], v[15:16], v[9:10], v[13:14]
	;; [unrolled: 1-line block ×3, first 2 shown]
	ds_write_b128 v8, v[4:7] offset:64800
.LBB0_15:
	s_andn2_saveexec_b32 s0, s5
	s_cbranch_execz .LBB0_17
; %bb.16:
	v_mov_b32_e32 v9, 0
	ds_read_b128 v[4:7], v9 offset:32400
	s_waitcnt lgkmcnt(0)
	v_add_f64 v[4:5], v[4:5], v[4:5]
	v_mul_f64 v[6:7], v[6:7], -2.0
	ds_write_b128 v9, v[4:7] offset:32400
.LBB0_17:
	s_or_b32 exec_lo, exec_lo, s0
	v_mov_b32_e32 v5, 0
	v_add_nc_u32_e32 v4, 0x87, v123
	v_add_nc_u32_e32 v207, 0x10e, v123
	v_add_nc_u32_e32 v13, 0x195, v123
	v_add_nc_u32_e32 v17, 0x21c, v123
	v_mov_b32_e32 v7, v5
	v_mov_b32_e32 v6, v4
	ds_write_b128 v255, v[0:3]
	v_mov_b32_e32 v192, v123
	s_mov_b32 s6, 0x134454ff
	v_mov_b32_e32 v10, v7
	v_lshlrev_b64 v[4:5], 4, v[6:7]
	v_mov_b32_e32 v9, v6
	v_mov_b32_e32 v218, v192
	s_mov_b32 s7, 0xbfee6f0e
	v_mov_b32_e32 v208, v10
	v_mov_b32_e32 v16, v10
	v_add_co_u32 v4, s0, s1, v4
	v_add_co_ci_u32_e64 v5, s0, s4, v5, s0
	v_mov_b32_e32 v15, v9
	v_lshlrev_b64 v[9:10], 4, v[207:208]
	v_mov_b32_e32 v14, v16
	global_load_dwordx4 v[4:7], v[4:5], off
	v_mov_b32_e32 v21, v16
	v_mov_b32_e32 v20, v15
	v_mul_u32_u24_e32 v192, 10, v218
	v_add_co_u32 v9, s0, s1, v9
	v_add_co_ci_u32_e64 v10, s0, s4, v10, s0
	v_mov_b32_e32 v16, v14
	v_mov_b32_e32 v18, v21
	;; [unrolled: 1-line block ×3, first 2 shown]
	global_load_dwordx4 v[9:12], v[9:10], off
	v_mov_b32_e32 v32, v21
	v_mov_b32_e32 v31, v20
	;; [unrolled: 1-line block ×3, first 2 shown]
	v_lshlrev_b64 v[13:14], 4, v[15:16]
	v_mov_b32_e32 v20, v17
	v_mov_b32_e32 v219, v15
	s_mov_b32 s11, 0x3fee6f0e
	s_mov_b32 s10, s6
	;; [unrolled: 1-line block ×3, first 2 shown]
	v_lshlrev_b64 v[17:18], 4, v[20:21]
	v_add_co_u32 v13, s0, s1, v13
	v_add_co_ci_u32_e64 v14, s0, s4, v14, s0
	v_mov_b32_e32 v236, v20
	v_add_co_u32 v21, s0, s1, v17
	global_load_dwordx4 v[13:16], v[13:14], off
	v_add_co_ci_u32_e64 v22, s0, s4, v18, s0
	ds_read_b128 v[0:3], v255 offset:2160
	ds_read_b128 v[17:20], v8 offset:62640
	s_mov_b32 s12, 0x372fe950
	s_mov_b32 s13, 0x3fd3c6ef
	global_load_dwordx4 v[21:24], v[21:22], off
	v_lshl_add_u32 v192, v192, 4, 0
	s_mov_b32 s18, 0x9b97f4a8
	s_mov_b32 s17, 0xbfd3c6ef
	;; [unrolled: 1-line block ×6, first 2 shown]
	s_waitcnt lgkmcnt(0)
	v_add_f64 v[25:26], v[0:1], v[17:18]
	v_add_f64 v[27:28], v[19:20], v[2:3]
	v_add_f64 v[29:30], v[0:1], -v[17:18]
	v_add_f64 v[0:1], v[2:3], -v[19:20]
	s_waitcnt vmcnt(3)
	v_fma_f64 v[2:3], v[29:30], v[6:7], v[25:26]
	v_fma_f64 v[17:18], v[27:28], v[6:7], v[0:1]
	v_fma_f64 v[19:20], -v[29:30], v[6:7], v[25:26]
	v_fma_f64 v[6:7], v[27:28], v[6:7], -v[0:1]
	v_fma_f64 v[0:1], -v[27:28], v[4:5], v[2:3]
	v_fma_f64 v[2:3], v[29:30], v[4:5], v[17:18]
	v_fma_f64 v[17:18], v[27:28], v[4:5], v[19:20]
	;; [unrolled: 1-line block ×3, first 2 shown]
	v_mov_b32_e32 v5, v32
	v_add_nc_u32_e32 v4, 0x2a3, v123
	ds_write_b128 v255, v[0:3] offset:2160
	ds_write_b128 v8, v[17:20] offset:62640
	v_mov_b32_e32 v238, v5
	v_mov_b32_e32 v237, v4
	v_lshlrev_b64 v[4:5], 4, v[237:238]
	v_add_co_u32 v25, s0, s1, v4
	v_add_co_ci_u32_e64 v26, s0, s4, v5, s0
	ds_read_b128 v[0:3], v255 offset:4320
	ds_read_b128 v[4:7], v8 offset:60480
	global_load_dwordx4 v[17:20], v[25:26], off
	s_waitcnt lgkmcnt(0)
	v_add_f64 v[25:26], v[0:1], v[4:5]
	v_add_f64 v[27:28], v[6:7], v[2:3]
	v_add_f64 v[29:30], v[0:1], -v[4:5]
	v_add_f64 v[0:1], v[2:3], -v[6:7]
	s_waitcnt vmcnt(3)
	v_fma_f64 v[2:3], v[29:30], v[11:12], v[25:26]
	v_fma_f64 v[4:5], v[27:28], v[11:12], v[0:1]
	v_fma_f64 v[6:7], -v[29:30], v[11:12], v[25:26]
	v_fma_f64 v[11:12], v[27:28], v[11:12], -v[0:1]
	v_fma_f64 v[0:1], -v[27:28], v[9:10], v[2:3]
	v_fma_f64 v[2:3], v[29:30], v[9:10], v[4:5]
	v_fma_f64 v[4:5], v[27:28], v[9:10], v[6:7]
	;; [unrolled: 1-line block ×3, first 2 shown]
	v_add_nc_u32_e32 v9, 0x32a, v123
	v_mov_b32_e32 v10, v32
	buffer_store_dword v9, off, s[24:27], 0 offset:40 ; 4-byte Folded Spill
	buffer_store_dword v10, off, s[24:27], 0 offset:44 ; 4-byte Folded Spill
	ds_write_b128 v255, v[0:3] offset:4320
	ds_write_b128 v8, v[4:7] offset:60480
	ds_read_b128 v[0:3], v255 offset:6480
	ds_read_b128 v[4:7], v8 offset:58320
	s_waitcnt lgkmcnt(0)
	v_add_f64 v[25:26], v[0:1], v[4:5]
	v_add_f64 v[27:28], v[6:7], v[2:3]
	v_add_f64 v[29:30], v[0:1], -v[4:5]
	v_add_f64 v[0:1], v[2:3], -v[6:7]
	s_waitcnt vmcnt(2)
	v_fma_f64 v[2:3], v[29:30], v[15:16], v[25:26]
	v_fma_f64 v[4:5], v[27:28], v[15:16], v[0:1]
	v_fma_f64 v[6:7], -v[29:30], v[15:16], v[25:26]
	v_fma_f64 v[15:16], v[27:28], v[15:16], -v[0:1]
	v_fma_f64 v[0:1], -v[27:28], v[13:14], v[2:3]
	v_fma_f64 v[2:3], v[29:30], v[13:14], v[4:5]
	v_fma_f64 v[4:5], v[27:28], v[13:14], v[6:7]
	v_fma_f64 v[6:7], v[29:30], v[13:14], v[15:16]
	v_add_nc_u32_e32 v13, 0x3b1, v123
	v_mov_b32_e32 v14, v32
	v_lshlrev_b64 v[9:10], 4, v[9:10]
	v_add_co_u32 v9, s0, s1, v9
	v_add_co_ci_u32_e64 v10, s0, s4, v10, s0
	global_load_dwordx4 v[9:12], v[9:10], off
	buffer_store_dword v13, off, s[24:27], 0 offset:48 ; 4-byte Folded Spill
	buffer_store_dword v14, off, s[24:27], 0 offset:52 ; 4-byte Folded Spill
	ds_write_b128 v255, v[0:3] offset:6480
	ds_write_b128 v8, v[4:7] offset:58320
	ds_read_b128 v[0:3], v255 offset:8640
	ds_read_b128 v[4:7], v8 offset:56160
	s_waitcnt lgkmcnt(0)
	v_add_f64 v[25:26], v[0:1], v[4:5]
	v_add_f64 v[27:28], v[6:7], v[2:3]
	v_add_f64 v[29:30], v[0:1], -v[4:5]
	v_add_f64 v[0:1], v[2:3], -v[6:7]
	s_waitcnt vmcnt(2)
	v_fma_f64 v[2:3], v[29:30], v[23:24], v[25:26]
	v_fma_f64 v[4:5], v[27:28], v[23:24], v[0:1]
	v_fma_f64 v[6:7], -v[29:30], v[23:24], v[25:26]
	v_fma_f64 v[23:24], v[27:28], v[23:24], -v[0:1]
	v_fma_f64 v[0:1], -v[27:28], v[21:22], v[2:3]
	v_fma_f64 v[2:3], v[29:30], v[21:22], v[4:5]
	v_fma_f64 v[4:5], v[27:28], v[21:22], v[6:7]
	v_fma_f64 v[6:7], v[29:30], v[21:22], v[23:24]
	v_add_nc_u32_e32 v21, 0x438, v123
	v_mov_b32_e32 v22, v32
	v_lshlrev_b64 v[13:14], 4, v[13:14]
	v_add_co_u32 v13, s0, s1, v13
	v_add_co_ci_u32_e64 v14, s0, s4, v14, s0
	global_load_dwordx4 v[13:16], v[13:14], off
	;; [unrolled: 26-line block ×3, first 2 shown]
	buffer_store_dword v17, off, s[24:27], 0 offset:64 ; 4-byte Folded Spill
	buffer_store_dword v18, off, s[24:27], 0 offset:68 ; 4-byte Folded Spill
	ds_write_b128 v255, v[0:3] offset:10800
	ds_write_b128 v8, v[4:7] offset:54000
	ds_read_b128 v[0:3], v255 offset:12960
	ds_read_b128 v[4:7], v8 offset:51840
	s_waitcnt lgkmcnt(0)
	v_add_f64 v[25:26], v[0:1], v[4:5]
	v_add_f64 v[27:28], v[6:7], v[2:3]
	v_add_f64 v[29:30], v[0:1], -v[4:5]
	v_add_f64 v[0:1], v[2:3], -v[6:7]
	s_waitcnt vmcnt(2)
	v_fma_f64 v[2:3], v[29:30], v[11:12], v[25:26]
	v_fma_f64 v[4:5], v[27:28], v[11:12], v[0:1]
	v_fma_f64 v[6:7], -v[29:30], v[11:12], v[25:26]
	v_fma_f64 v[11:12], v[27:28], v[11:12], -v[0:1]
	v_fma_f64 v[0:1], -v[27:28], v[9:10], v[2:3]
	v_fma_f64 v[2:3], v[29:30], v[9:10], v[4:5]
	v_fma_f64 v[4:5], v[27:28], v[9:10], v[6:7]
	;; [unrolled: 1-line block ×3, first 2 shown]
	v_add_nc_u32_e32 v9, 0x546, v123
	v_mov_b32_e32 v10, v32
	v_lshlrev_b64 v[9:10], 4, v[9:10]
	v_lshlrev_b64 v[17:18], 4, v[17:18]
	v_add_co_u32 v17, s0, s1, v17
	v_add_co_ci_u32_e64 v18, s0, s4, v18, s0
	v_add_co_u32 v9, s0, s1, v9
	v_add_co_ci_u32_e64 v10, s0, s4, v10, s0
	global_load_dwordx4 v[17:20], v[17:18], off
	ds_write_b128 v255, v[0:3] offset:12960
	ds_write_b128 v8, v[4:7] offset:51840
	ds_read_b128 v[0:3], v255 offset:15120
	ds_read_b128 v[4:7], v8 offset:49680
	global_load_dwordx4 v[9:12], v[9:10], off
	s_waitcnt lgkmcnt(0)
	v_add_f64 v[25:26], v[0:1], v[4:5]
	v_add_f64 v[27:28], v[6:7], v[2:3]
	v_add_f64 v[29:30], v[0:1], -v[4:5]
	v_add_f64 v[0:1], v[2:3], -v[6:7]
	s_waitcnt vmcnt(3)
	v_fma_f64 v[2:3], v[29:30], v[15:16], v[25:26]
	v_fma_f64 v[4:5], v[27:28], v[15:16], v[0:1]
	v_fma_f64 v[6:7], -v[29:30], v[15:16], v[25:26]
	v_fma_f64 v[15:16], v[27:28], v[15:16], -v[0:1]
	v_fma_f64 v[0:1], -v[27:28], v[13:14], v[2:3]
	v_fma_f64 v[2:3], v[29:30], v[13:14], v[4:5]
	v_fma_f64 v[4:5], v[27:28], v[13:14], v[6:7]
	;; [unrolled: 1-line block ×3, first 2 shown]
	ds_write_b128 v255, v[0:3] offset:15120
	ds_write_b128 v8, v[4:7] offset:49680
	ds_read_b128 v[0:3], v255 offset:17280
	ds_read_b128 v[4:7], v8 offset:47520
	v_add_nc_u32_e32 v13, 0x5cd, v123
	v_mov_b32_e32 v14, v32
	v_lshlrev_b64 v[13:14], 4, v[13:14]
	v_add_co_u32 v13, s0, s1, v13
	v_add_co_ci_u32_e64 v14, s0, s4, v14, s0
	s_waitcnt lgkmcnt(0)
	v_add_f64 v[25:26], v[0:1], v[4:5]
	v_add_f64 v[27:28], v[6:7], v[2:3]
	v_add_f64 v[29:30], v[0:1], -v[4:5]
	v_add_f64 v[0:1], v[2:3], -v[6:7]
	global_load_dwordx4 v[13:16], v[13:14], off
	s_waitcnt vmcnt(3)
	v_fma_f64 v[2:3], v[29:30], v[23:24], v[25:26]
	v_fma_f64 v[4:5], v[27:28], v[23:24], v[0:1]
	v_fma_f64 v[6:7], -v[29:30], v[23:24], v[25:26]
	v_fma_f64 v[23:24], v[27:28], v[23:24], -v[0:1]
	v_fma_f64 v[0:1], -v[27:28], v[21:22], v[2:3]
	v_fma_f64 v[2:3], v[29:30], v[21:22], v[4:5]
	v_fma_f64 v[4:5], v[27:28], v[21:22], v[6:7]
	;; [unrolled: 1-line block ×3, first 2 shown]
	ds_write_b128 v255, v[0:3] offset:17280
	ds_write_b128 v8, v[4:7] offset:47520
	ds_read_b128 v[0:3], v255 offset:19440
	ds_read_b128 v[4:7], v8 offset:45360
	v_add_nc_u32_e32 v21, 0x654, v123
	v_mov_b32_e32 v22, v32
	v_lshlrev_b64 v[21:22], 4, v[21:22]
	v_add_co_u32 v21, s0, s1, v21
	v_add_co_ci_u32_e64 v22, s0, s4, v22, s0
	s_waitcnt lgkmcnt(0)
	v_add_f64 v[25:26], v[0:1], v[4:5]
	v_add_f64 v[27:28], v[6:7], v[2:3]
	v_add_f64 v[29:30], v[0:1], -v[4:5]
	v_add_f64 v[0:1], v[2:3], -v[6:7]
	global_load_dwordx4 v[21:24], v[21:22], off
	s_waitcnt vmcnt(3)
	v_fma_f64 v[2:3], v[29:30], v[19:20], v[25:26]
	v_fma_f64 v[4:5], v[27:28], v[19:20], v[0:1]
	v_fma_f64 v[6:7], -v[29:30], v[19:20], v[25:26]
	v_fma_f64 v[19:20], v[27:28], v[19:20], -v[0:1]
	v_fma_f64 v[0:1], -v[27:28], v[17:18], v[2:3]
	v_fma_f64 v[2:3], v[29:30], v[17:18], v[4:5]
	v_fma_f64 v[4:5], v[27:28], v[17:18], v[6:7]
	;; [unrolled: 1-line block ×3, first 2 shown]
	v_mov_b32_e32 v18, v32
	buffer_store_dword v31, off, s[24:27], 0 ; 4-byte Folded Spill
	buffer_store_dword v32, off, s[24:27], 0 offset:4 ; 4-byte Folded Spill
	v_add_nc_u32_e32 v17, 0x6db, v123
	ds_write_b128 v255, v[0:3] offset:19440
	ds_write_b128 v8, v[4:7] offset:45360
	v_lshlrev_b64 v[17:18], 4, v[17:18]
	ds_read_b128 v[0:3], v255 offset:21600
	ds_read_b128 v[4:7], v8 offset:43200
	v_add_co_u32 v17, s0, s1, v17
	v_add_co_ci_u32_e64 v18, s0, s4, v18, s0
	global_load_dwordx4 v[17:20], v[17:18], off
	s_waitcnt lgkmcnt(0)
	v_add_f64 v[25:26], v[0:1], v[4:5]
	v_add_f64 v[27:28], v[6:7], v[2:3]
	v_add_f64 v[29:30], v[0:1], -v[4:5]
	v_add_f64 v[0:1], v[2:3], -v[6:7]
	s_waitcnt vmcnt(3)
	v_fma_f64 v[2:3], v[29:30], v[11:12], v[25:26]
	v_fma_f64 v[4:5], v[27:28], v[11:12], v[0:1]
	v_fma_f64 v[6:7], -v[29:30], v[11:12], v[25:26]
	v_fma_f64 v[11:12], v[27:28], v[11:12], -v[0:1]
	v_fma_f64 v[0:1], -v[27:28], v[9:10], v[2:3]
	v_fma_f64 v[2:3], v[29:30], v[9:10], v[4:5]
	v_fma_f64 v[4:5], v[27:28], v[9:10], v[6:7]
	;; [unrolled: 1-line block ×3, first 2 shown]
	v_add_nc_u32_e32 v9, 0x762, v123
	ds_write_b128 v255, v[0:3] offset:21600
	ds_write_b128 v8, v[4:7] offset:43200
	ds_read_b128 v[0:3], v255 offset:23760
	ds_read_b128 v[4:7], v8 offset:41040
	s_waitcnt lgkmcnt(0)
	v_add_f64 v[25:26], v[0:1], v[4:5]
	v_add_f64 v[27:28], v[6:7], v[2:3]
	v_add_f64 v[29:30], v[0:1], -v[4:5]
	v_add_f64 v[0:1], v[2:3], -v[6:7]
	s_waitcnt vmcnt(2)
	v_fma_f64 v[2:3], v[29:30], v[15:16], v[25:26]
	v_fma_f64 v[4:5], v[27:28], v[15:16], v[0:1]
	v_fma_f64 v[6:7], -v[29:30], v[15:16], v[25:26]
	v_fma_f64 v[15:16], v[27:28], v[15:16], -v[0:1]
	v_fma_f64 v[0:1], -v[27:28], v[13:14], v[2:3]
	v_fma_f64 v[2:3], v[29:30], v[13:14], v[4:5]
	v_fma_f64 v[4:5], v[27:28], v[13:14], v[6:7]
	;; [unrolled: 1-line block ×3, first 2 shown]
	v_mov_b32_e32 v10, v32
	v_lshlrev_b64 v[9:10], 4, v[9:10]
	v_add_co_u32 v9, s0, s1, v9
	v_add_co_ci_u32_e64 v10, s0, s4, v10, s0
	s_mov_b32 s0, 0x4755a5e
	s_mov_b32 s1, 0xbfe2cf23
	;; [unrolled: 1-line block ×3, first 2 shown]
	global_load_dwordx4 v[9:12], v[9:10], off
	ds_write_b128 v255, v[0:3] offset:23760
	ds_write_b128 v8, v[4:7] offset:41040
	ds_read_b128 v[0:3], v255 offset:25920
	ds_read_b128 v[4:7], v8 offset:38880
	s_waitcnt lgkmcnt(0)
	v_add_f64 v[13:14], v[0:1], v[4:5]
	v_add_f64 v[15:16], v[6:7], v[2:3]
	v_add_f64 v[25:26], v[0:1], -v[4:5]
	v_add_f64 v[0:1], v[2:3], -v[6:7]
	s_waitcnt vmcnt(2)
	v_fma_f64 v[2:3], v[25:26], v[23:24], v[13:14]
	v_fma_f64 v[4:5], v[15:16], v[23:24], v[0:1]
	v_fma_f64 v[6:7], -v[25:26], v[23:24], v[13:14]
	v_fma_f64 v[13:14], v[15:16], v[23:24], -v[0:1]
	v_fma_f64 v[0:1], -v[15:16], v[21:22], v[2:3]
	v_fma_f64 v[2:3], v[25:26], v[21:22], v[4:5]
	v_fma_f64 v[4:5], v[15:16], v[21:22], v[6:7]
	v_fma_f64 v[6:7], v[25:26], v[21:22], v[13:14]
	ds_write_b128 v255, v[0:3] offset:25920
	ds_write_b128 v8, v[4:7] offset:38880
	ds_read_b128 v[0:3], v255 offset:28080
	ds_read_b128 v[4:7], v8 offset:36720
	s_waitcnt lgkmcnt(0)
	v_add_f64 v[13:14], v[0:1], v[4:5]
	v_add_f64 v[15:16], v[6:7], v[2:3]
	v_add_f64 v[21:22], v[0:1], -v[4:5]
	v_add_f64 v[0:1], v[2:3], -v[6:7]
	s_waitcnt vmcnt(1)
	v_fma_f64 v[2:3], v[21:22], v[19:20], v[13:14]
	v_fma_f64 v[4:5], v[15:16], v[19:20], v[0:1]
	v_fma_f64 v[6:7], -v[21:22], v[19:20], v[13:14]
	v_fma_f64 v[13:14], v[15:16], v[19:20], -v[0:1]
	v_fma_f64 v[0:1], -v[15:16], v[17:18], v[2:3]
	v_fma_f64 v[2:3], v[21:22], v[17:18], v[4:5]
	v_fma_f64 v[4:5], v[15:16], v[17:18], v[6:7]
	v_fma_f64 v[6:7], v[21:22], v[17:18], v[13:14]
	;; [unrolled: 18-line block ×3, first 2 shown]
	ds_write_b128 v255, v[0:3] offset:30240
	ds_write_b128 v8, v[4:7] offset:34560
	s_waitcnt lgkmcnt(0)
	s_waitcnt_vscnt null, 0x0
	s_barrier
	buffer_gl0_inv
	s_barrier
	buffer_gl0_inv
	ds_read_b128 v[48:51], v255 offset:25920
	ds_read_b128 v[56:59], v255 offset:28080
	;; [unrolled: 1-line block ×4, first 2 shown]
	ds_read_b128 v[60:63], v255
	ds_read_b128 v[52:55], v255 offset:2160
	ds_read_b128 v[68:71], v255 offset:12960
	;; [unrolled: 1-line block ×25, first 2 shown]
	s_waitcnt lgkmcnt(22)
	v_add_f64 v[128:129], v[52:53], v[64:65]
	v_add_f64 v[158:159], v[56:57], v[8:9]
	s_waitcnt lgkmcnt(20)
	v_add_f64 v[164:165], v[66:67], v[2:3]
	v_add_f64 v[112:113], v[60:61], v[68:69]
	;; [unrolled: 1-line block ×3, first 2 shown]
	s_waitcnt lgkmcnt(17)
	v_add_f64 v[120:121], v[72:73], v[88:89]
	s_waitcnt lgkmcnt(13)
	v_add_f64 v[134:135], v[102:103], v[38:39]
	v_add_f64 v[132:133], v[100:101], v[36:37]
	s_waitcnt lgkmcnt(11)
	v_add_f64 v[136:137], v[88:89], v[20:21]
	v_add_f64 v[156:157], v[90:91], v[22:23]
	;; [unrolled: 1-line block ×4, first 2 shown]
	s_waitcnt lgkmcnt(7)
	v_add_f64 v[166:167], v[144:145], v[104:105]
	v_add_f64 v[172:173], v[146:147], v[106:107]
	;; [unrolled: 1-line block ×5, first 2 shown]
	v_add_f64 v[138:139], v[70:71], -v[6:7]
	v_add_f64 v[188:189], v[70:71], -v[50:51]
	v_add_f64 v[228:229], v[50:51], -v[70:71]
	v_add_f64 v[220:221], v[64:65], -v[56:57]
	v_add_f64 v[201:202], v[56:57], -v[64:65]
	v_add_f64 v[162:163], v[64:65], v[0:1]
	v_add_f64 v[92:93], v[64:65], -v[0:1]
	v_add_f64 v[70:71], v[56:57], -v[8:9]
	s_waitcnt lgkmcnt(3)
	v_add_f64 v[174:175], v[108:109], v[40:41]
	v_add_f64 v[76:77], v[104:105], -v[108:109]
	v_add_f64 v[208:209], v[108:109], -v[104:105]
	;; [unrolled: 1-line block ×5, first 2 shown]
	s_waitcnt lgkmcnt(1)
	v_add_f64 v[96:97], v[106:107], -v[30:31]
	v_add_f64 v[216:217], v[104:105], v[28:29]
	v_add_f64 v[98:99], v[104:105], -v[28:29]
	v_add_f64 v[230:231], v[106:107], v[30:31]
	v_add_f64 v[128:129], v[128:129], v[56:57]
	;; [unrolled: 1-line block ×3, first 2 shown]
	v_fma_f64 v[104:105], v[134:135], -0.5, v[74:75]
	v_add_f64 v[224:225], v[170:171], v[178:179]
	v_add_f64 v[134:135], v[166:167], v[108:109]
	v_fma_f64 v[106:107], v[158:159], -0.5, v[52:53]
	v_fma_f64 v[108:109], v[164:165], -0.5, v[54:55]
	v_add_f64 v[158:159], v[182:183], v[46:47]
	s_waitcnt lgkmcnt(0)
	v_add_f64 v[164:165], v[178:179], v[26:27]
	v_add_f64 v[184:185], v[68:69], -v[48:49]
	v_add_f64 v[186:187], v[48:49], -v[68:69]
	;; [unrolled: 1-line block ×3, first 2 shown]
	v_add_f64 v[48:49], v[112:113], v[48:49]
	v_add_f64 v[118:119], v[68:69], v[4:5]
	;; [unrolled: 1-line block ×3, first 2 shown]
	v_add_f64 v[232:233], v[4:5], -v[12:13]
	v_add_f64 v[122:123], v[74:75], v[90:91]
	v_add_f64 v[243:244], v[88:89], -v[100:101]
	v_add_f64 v[245:246], v[100:101], -v[88:89]
	v_add_f64 v[84:85], v[100:101], -v[36:37]
	v_add_f64 v[82:83], v[58:59], -v[10:11]
	v_add_f64 v[190:191], v[66:67], -v[58:59]
	v_add_f64 v[203:204], v[58:59], -v[66:67]
	v_add_f64 v[214:215], v[110:111], v[42:43]
	v_add_f64 v[253:254], v[140:141], v[152:153]
	;; [unrolled: 1-line block ×4, first 2 shown]
	v_fma_f64 v[100:101], v[116:117], -0.5, v[60:61]
	v_add_f64 v[130:131], v[130:131], v[58:59]
	v_add_f64 v[222:223], v[154:155], v[18:19]
	v_fma_f64 v[58:59], v[132:133], -0.5, v[72:73]
	v_fma_f64 v[72:73], v[136:137], -0.5, v[72:73]
	;; [unrolled: 1-line block ×3, first 2 shown]
	v_add_f64 v[156:157], v[168:169], v[176:177]
	v_add_f64 v[136:137], v[172:173], v[110:111]
	;; [unrolled: 1-line block ×4, first 2 shown]
	v_fma_f64 v[74:75], v[160:161], -0.5, v[54:55]
	v_fma_f64 v[160:161], v[195:196], -0.5, v[140:141]
	v_add_f64 v[195:196], v[28:29], -v[40:41]
	v_fma_f64 v[166:167], v[56:57], -0.5, v[140:141]
	v_fma_f64 v[158:159], v[158:159], -0.5, v[170:171]
	;; [unrolled: 1-line block ×3, first 2 shown]
	v_add_f64 v[170:171], v[224:225], v[182:183]
	v_add_f64 v[56:57], v[36:37], -v[20:21]
	v_add_f64 v[224:225], v[30:31], -v[42:43]
	buffer_store_dword v48, off, s[24:27], 0 offset:80 ; 4-byte Folded Spill
	buffer_store_dword v49, off, s[24:27], 0 offset:84 ; 4-byte Folded Spill
	v_add_f64 v[197:198], v[50:51], -v[14:15]
	v_add_f64 v[239:240], v[6:7], -v[14:15]
	;; [unrolled: 1-line block ×9, first 2 shown]
	v_add_f64 v[114:115], v[114:115], v[50:51]
	v_add_f64 v[122:123], v[122:123], v[102:103]
	v_add_f64 v[48:49], v[150:151], -v[34:35]
	v_add_f64 v[212:213], v[152:153], -v[148:149]
	v_fma_f64 v[102:103], v[118:119], -0.5, v[60:61]
	v_fma_f64 v[60:61], v[124:125], -0.5, v[62:63]
	;; [unrolled: 1-line block ×3, first 2 shown]
	v_add_f64 v[112:113], v[148:149], -v[152:153]
	v_add_f64 v[226:227], v[150:151], v[34:35]
	v_fma_f64 v[118:119], v[162:163], -0.5, v[52:53]
	v_fma_f64 v[110:111], v[174:175], -0.5, v[144:145]
	;; [unrolled: 1-line block ×5, first 2 shown]
	v_add_f64 v[50:51], v[148:149], -v[32:33]
	v_add_f64 v[214:215], v[154:155], -v[150:151]
	v_add_f64 v[146:147], v[253:254], v[148:149]
	v_add_f64 v[148:149], v[193:194], v[150:151]
	v_add_f64 v[150:151], v[150:151], -v[154:155]
	v_add_f64 v[253:254], v[154:155], -v[18:19]
	;; [unrolled: 1-line block ×3, first 2 shown]
	v_fma_f64 v[162:163], v[222:223], -0.5, v[142:143]
	v_add_f64 v[230:231], v[176:177], -v[180:181]
	v_add_f64 v[222:223], v[180:181], -v[176:177]
	v_fma_f64 v[152:153], v[172:173], -0.5, v[168:169]
	v_fma_f64 v[154:155], v[234:235], -0.5, v[168:169]
	v_add_f64 v[168:169], v[156:157], v[180:181]
	v_add_f64 v[144:145], v[176:177], -v[24:25]
	v_add_f64 v[176:177], v[184:185], v[232:233]
	v_add_f64 v[156:157], v[38:39], -v[22:23]
	v_add_f64 v[172:173], v[0:1], -v[8:9]
	;; [unrolled: 1-line block ×5, first 2 shown]
	v_add_f64 v[195:196], v[76:77], v[195:196]
	v_add_f64 v[76:77], v[18:19], -v[34:35]
	v_add_f64 v[184:185], v[245:246], v[56:57]
	v_add_f64 v[56:57], v[64:65], v[224:225]
	v_add_f64 v[64:65], v[24:25], -v[44:45]
	v_and_b32_e32 v224, 0xff, v218
	v_fma_f64 v[226:227], v[226:227], -0.5, v[142:143]
	v_add_f64 v[216:217], v[178:179], -v[182:183]
	v_add_f64 v[174:175], v[182:183], -v[178:179]
	;; [unrolled: 1-line block ×3, first 2 shown]
	v_add_f64 v[178:179], v[188:189], v[239:240]
	v_add_f64 v[188:189], v[228:229], v[241:242]
	buffer_store_dword v224, off, s[24:27], 0 offset:72 ; 4-byte Folded Spill
	v_add_f64 v[78:79], v[68:69], -v[4:5]
	v_add_f64 v[68:69], v[12:13], -v[4:5]
	;; [unrolled: 1-line block ×4, first 2 shown]
	v_add_f64 v[228:229], v[199:200], v[156:157]
	v_add_f64 v[156:157], v[220:221], v[172:173]
	;; [unrolled: 1-line block ×5, first 2 shown]
	v_mov_b32_e32 v233, v218
	v_mul_lo_u16 v218, 0xcd, v224
	v_add_f64 v[214:215], v[214:215], v[76:77]
	buffer_store_dword v233, off, s[24:27], 0 offset:24 ; 4-byte Folded Spill
	buffer_store_dword v234, off, s[24:27], 0 offset:28 ; 4-byte Folded Spill
	v_lshrrev_b16 v76, 11, v218
	v_add_f64 v[64:65], v[230:231], v[64:65]
	v_add_f64 v[172:173], v[42:43], -v[30:31]
	v_add_f64 v[190:191], v[16:17], -v[32:33]
	;; [unrolled: 1-line block ×3, first 2 shown]
	buffer_store_dword v76, off, s[24:27], 0 offset:76 ; 4-byte Folded Spill
	s_clause 0x1
	buffer_load_dword v231, off, s[24:27], 0
	buffer_load_dword v232, off, s[24:27], 0 offset:4
	v_mul_lo_u16 v76, v76, 10
	v_add_f64 v[186:187], v[186:187], v[68:69]
	v_add_f64 v[68:69], v[26:27], -v[46:47]
	v_add_f64 v[203:204], v[32:33], -v[16:17]
	v_add_f64 v[40:41], v[134:135], v[40:41]
	v_add_f64 v[32:33], v[146:147], v[32:33]
	v_add_f64 v[140:141], v[180:181], -v[44:45]
	v_add_f64 v[224:225], v[46:47], -v[26:27]
	v_add_f64 v[36:37], v[120:121], v[36:37]
	v_add_f64 v[8:9], v[128:129], v[8:9]
	v_add_f64 v[251:252], v[22:23], -v[38:39]
	v_add_f64 v[38:39], v[122:123], v[38:39]
	v_add_f64 v[10:11], v[130:131], v[10:11]
	;; [unrolled: 1-line block ×3, first 2 shown]
	v_add_f64 v[52:53], v[182:183], -v[46:47]
	v_add_f64 v[14:15], v[114:115], v[14:15]
	v_add_f64 v[46:47], v[170:171], v[46:47]
	;; [unrolled: 1-line block ×4, first 2 shown]
	v_mov_b32_e32 v191, 0xcccd
	v_add_f64 v[199:200], v[208:209], v[199:200]
	v_add_f64 v[208:209], v[34:35], -v[18:19]
	v_add_f64 v[212:213], v[44:45], -v[24:25]
	v_fma_f64 v[114:115], v[197:198], s[10:11], v[102:103]
	v_fma_f64 v[102:103], v[197:198], s[6:7], v[102:103]
	;; [unrolled: 1-line block ×10, first 2 shown]
	v_add_f64 v[44:45], v[168:169], v[44:45]
	v_add_f64 v[34:35], v[148:149], v[34:35]
	v_fma_f64 v[104:105], v[88:89], s[6:7], v[104:105]
	v_add_f64 v[68:69], v[216:217], v[68:69]
	v_add_f64 v[112:113], v[112:113], v[203:204]
	v_fma_f64 v[120:121], v[138:139], s[6:7], v[100:101]
	v_fma_f64 v[168:169], v[90:91], s[6:7], v[106:107]
	;; [unrolled: 1-line block ×5, first 2 shown]
	v_add_f64 v[150:151], v[150:151], v[208:209]
	v_add_f64 v[203:204], v[222:223], v[212:213]
	v_fma_f64 v[208:209], v[92:93], s[10:11], v[74:75]
	v_fma_f64 v[74:75], v[92:93], s[6:7], v[74:75]
	;; [unrolled: 1-line block ×11, first 2 shown]
	v_add_f64 v[28:29], v[40:41], v[28:29]
	v_fma_f64 v[40:41], v[144:145], s[10:11], v[158:159]
	v_add_f64 v[32:33], v[32:33], v[16:17]
	v_fma_f64 v[16:17], v[142:143], s[6:7], v[152:153]
	v_add_f64 v[174:175], v[174:175], v[224:225]
	v_fma_f64 v[128:129], v[78:79], s[10:11], v[60:61]
	v_add_f64 v[20:21], v[36:37], v[20:21]
	v_fma_f64 v[36:37], v[253:254], s[6:7], v[160:161]
	v_add_f64 v[224:225], v[8:9], v[0:1]
	v_fma_f64 v[8:9], v[140:141], s[6:7], v[164:165]
	v_add_f64 v[22:23], v[38:39], v[22:23]
	v_fma_f64 v[38:39], v[253:254], s[10:11], v[160:161]
	v_fma_f64 v[160:161], v[50:51], s[6:7], v[162:163]
	v_fma_f64 v[162:163], v[50:51], s[10:11], v[162:163]
	v_add_f64 v[30:31], v[42:43], v[30:31]
	v_fma_f64 v[42:43], v[144:145], s[6:7], v[158:159]
	v_add_f64 v[180:181], v[243:244], v[249:250]
	v_add_f64 v[182:183], v[247:248], v[251:252]
	v_fma_f64 v[60:61], v[78:79], s[6:7], v[60:61]
	v_add_f64 v[6:7], v[14:15], v[6:7]
	v_fma_f64 v[14:15], v[96:97], s[10:11], v[110:111]
	v_fma_f64 v[0:1], v[54:55], s[10:11], v[226:227]
	v_add_f64 v[26:27], v[46:47], v[26:27]
	v_fma_f64 v[46:47], v[138:139], s[4:5], v[102:103]
	v_fma_f64 v[62:63], v[78:79], s[0:1], v[62:63]
	;; [unrolled: 1-line block ×5, first 2 shown]
	v_add_f64 v[24:25], v[44:45], v[24:25]
	v_add_f64 v[34:35], v[34:35], v[18:19]
	v_fma_f64 v[18:19], v[142:143], s[10:11], v[152:153]
	v_fma_f64 v[84:85], v[84:85], s[0:1], v[104:105]
	v_fma_f64 v[104:105], v[197:198], s[0:1], v[120:121]
	v_fma_f64 v[120:121], v[96:97], s[0:1], v[222:223]
	v_fma_f64 v[58:59], v[80:81], s[4:5], v[58:59]
	v_fma_f64 v[100:101], v[138:139], s[10:11], v[100:101]
	v_fma_f64 v[44:45], v[138:139], s[0:1], v[114:115]
	v_fma_f64 v[40:41], v[140:141], s[4:5], v[40:41]
	v_fma_f64 v[138:139], v[52:53], s[0:1], v[16:17]
	v_fma_f64 v[158:159], v[52:53], s[10:11], v[154:155]
	v_fma_f64 v[114:115], v[205:206], s[4:5], v[128:129]
	v_fma_f64 v[36:37], v[48:49], s[0:1], v[36:37]
	v_fma_f64 v[154:155], v[52:53], s[6:7], v[154:155]
	v_fma_f64 v[128:129], v[54:55], s[4:5], v[160:161]
	v_fma_f64 v[42:43], v[140:141], s[0:1], v[42:43]
	v_fma_f64 v[38:39], v[48:49], s[4:5], v[38:39]
	v_fma_f64 v[60:61], v[205:206], s[0:1], v[60:61]
	v_mov_b32_e32 v190, 6
	v_add_f64 v[16:17], v[32:33], v[24:25]
	v_fma_f64 v[52:53], v[52:53], s[4:5], v[18:19]
	v_add_f64 v[18:19], v[34:35], v[26:27]
	v_fma_f64 v[58:59], v[180:181], s[12:13], v[58:59]
	v_fma_f64 v[100:101], v[197:198], s[4:5], v[100:101]
	;; [unrolled: 1-line block ×7, first 2 shown]
	v_sub_nc_u16 v230, v233, v76
	v_add_f64 v[233:234], v[10:11], v[2:3]
	v_fma_f64 v[10:11], v[140:141], s[10:11], v[164:165]
	v_fma_f64 v[2:3], v[54:55], s[6:7], v[226:227]
	;; [unrolled: 1-line block ×3, first 2 shown]
	v_lshlrev_b32_sdwa v218, v190, v230 dst_sel:DWORD dst_unused:UNUSED_PAD src0_sel:DWORD src1_sel:BYTE_0
	s_waitcnt vmcnt(1)
	v_mul_u32_u24_sdwa v77, v231, v191 dst_sel:DWORD dst_unused:UNUSED_PAD src0_sel:WORD_0 src1_sel:DWORD
	v_lshrrev_b32_e32 v235, 19, v77
	buffer_store_dword v235, off, s[24:27], 0 offset:88 ; 4-byte Folded Spill
	s_waitcnt vmcnt(0)
	s_waitcnt_vscnt null, 0x0
	s_barrier
	buffer_gl0_inv
	s_clause 0x1
	buffer_load_dword v76, off, s[24:27], 0 offset:80
	buffer_load_dword v77, off, s[24:27], 0 offset:84
	s_waitcnt vmcnt(0)
	v_add_f64 v[12:13], v[76:77], v[12:13]
	v_fma_f64 v[76:77], v[78:79], s[4:5], v[122:123]
	v_fma_f64 v[78:79], v[88:89], s[4:5], v[130:131]
	;; [unrolled: 1-line block ×14, first 2 shown]
	v_add_f64 v[10:11], v[233:234], v[30:31]
	v_add_f64 v[8:9], v[224:225], v[28:29]
	;; [unrolled: 1-line block ×3, first 2 shown]
	v_fma_f64 v[12:13], v[96:97], s[6:7], v[110:111]
	v_fma_f64 v[96:97], v[96:97], s[4:5], v[124:125]
	;; [unrolled: 1-line block ×10, first 2 shown]
	v_add_f64 v[2:3], v[6:7], v[22:23]
	v_add_f64 v[6:7], v[6:7], -v[22:23]
	v_add_f64 v[22:23], v[34:35], -v[26:27]
	v_fma_f64 v[34:35], v[228:229], s[12:13], v[88:89]
	v_fma_f64 v[26:27], v[186:187], s[12:13], v[46:47]
	;; [unrolled: 1-line block ×8, first 2 shown]
	v_add_f64 v[0:1], v[4:5], v[20:21]
	v_fma_f64 v[74:75], v[66:67], s[0:1], v[12:13]
	v_fma_f64 v[66:67], v[66:67], s[4:5], v[14:15]
	v_add_f64 v[14:15], v[233:234], -v[30:31]
	v_fma_f64 v[30:31], v[188:189], s[12:13], v[62:63]
	v_fma_f64 v[62:63], v[182:183], s[12:13], v[86:87]
	;; [unrolled: 1-line block ×3, first 2 shown]
	v_add_f64 v[4:5], v[4:5], -v[20:21]
	v_add_f64 v[20:21], v[32:33], -v[24:25]
	v_fma_f64 v[32:33], v[228:229], s[12:13], v[78:79]
	v_add_f64 v[12:13], v[224:225], -v[28:29]
	v_fma_f64 v[28:29], v[188:189], s[12:13], v[76:77]
	v_fma_f64 v[76:77], v[176:177], s[12:13], v[104:105]
	;; [unrolled: 1-line block ×15, first 2 shown]
	ds_write_b128 v192, v[0:3]
	ds_write_b128 v192, v[4:7] offset:80
	ds_write_b128 v192, v[8:11] offset:21600
	;; [unrolled: 1-line block ×5, first 2 shown]
	v_mul_f64 v[0:1], v[62:63], s[0:1]
	v_mul_f64 v[2:3], v[86:87], s[4:5]
	;; [unrolled: 1-line block ×11, first 2 shown]
	v_fma_f64 v[96:97], v[199:200], s[12:13], v[96:97]
	v_mul_f64 v[32:33], v[98:99], s[6:7]
	v_mul_f64 v[34:35], v[98:99], s[16:17]
	v_fma_f64 v[78:79], v[176:177], s[12:13], v[100:101]
	v_mul_f64 v[18:19], v[74:75], s[4:5]
	v_fma_f64 v[100:101], v[156:157], s[12:13], v[124:125]
	v_fma_f64 v[66:67], v[195:196], s[12:13], v[66:67]
	;; [unrolled: 1-line block ×7, first 2 shown]
	v_mul_f64 v[50:51], v[56:57], s[0:1]
	v_mul_f64 v[52:53], v[56:57], s[14:15]
	;; [unrolled: 1-line block ×4, first 2 shown]
	v_fma_f64 v[116:117], v[214:215], s[12:13], v[48:49]
	v_fma_f64 v[48:49], v[203:204], s[12:13], v[134:135]
	v_mul_f64 v[68:69], v[36:37], s[6:7]
	v_mul_f64 v[36:37], v[36:37], s[12:13]
	v_fma_f64 v[122:123], v[203:204], s[12:13], v[136:137]
	v_mul_f64 v[72:73], v[54:55], s[6:7]
	v_mul_f64 v[54:55], v[54:55], s[16:17]
	;; [unrolled: 1-line block ×4, first 2 shown]
	v_fma_f64 v[86:87], v[86:87], s[18:19], v[0:1]
	v_fma_f64 v[62:63], v[62:63], s[18:19], v[2:3]
	v_fma_f64 v[104:105], v[44:45], s[12:13], v[4:5]
	v_fma_f64 v[44:45], v[44:45], s[10:11], v[6:7]
	v_fma_f64 v[108:109], v[201:202], s[12:13], v[118:119]
	v_fma_f64 v[118:119], v[150:151], s[12:13], v[128:129]
	v_fma_f64 v[128:129], v[46:47], s[16:17], v[8:9]
	v_fma_f64 v[46:47], v[46:47], s[10:11], v[10:11]
	v_fma_f64 v[130:131], v[58:59], s[14:15], v[12:13]
	v_fma_f64 v[58:59], v[58:59], s[4:5], v[14:15]
	v_fma_f64 v[74:75], v[74:75], s[18:19], v[16:17]
	v_fma_f64 v[88:89], v[88:89], s[18:19], v[18:19]
	v_fma_f64 v[80:81], v[193:194], s[12:13], v[80:81]
	v_fma_f64 v[132:133], v[106:107], s[12:13], v[20:21]
	v_fma_f64 v[106:107], v[106:107], s[10:11], v[22:23]
	v_fma_f64 v[90:91], v[193:194], s[12:13], v[90:91]
	v_fma_f64 v[92:93], v[201:202], s[12:13], v[92:93]
	v_fma_f64 v[134:135], v[96:97], s[16:17], v[32:33]
	v_fma_f64 v[96:97], v[96:97], s[10:11], v[34:35]
	v_fma_f64 v[82:83], v[156:157], s[12:13], v[82:83]
	v_fma_f64 v[70:71], v[220:221], s[12:13], v[70:71]
	v_fma_f64 v[136:137], v[66:67], s[14:15], v[50:51]
	v_fma_f64 v[66:67], v[66:67], s[4:5], v[52:53]
	v_fma_f64 v[94:95], v[94:95], s[18:19], v[56:57]
	v_fma_f64 v[138:139], v[40:41], s[18:19], v[64:65]
	v_fma_f64 v[140:141], v[48:49], s[12:13], v[68:69]
	v_fma_f64 v[142:143], v[48:49], s[10:11], v[36:37]
	v_fma_f64 v[144:145], v[122:123], s[16:17], v[72:73]
	v_fma_f64 v[122:123], v[122:123], s[10:11], v[54:55]
	v_fma_f64 v[98:99], v[38:39], s[14:15], v[98:99]
	v_fma_f64 v[146:147], v[38:39], s[4:5], v[42:43]
	v_add_f64 v[0:1], v[76:77], v[86:87]
	v_add_f64 v[2:3], v[84:85], v[62:63]
	;; [unrolled: 1-line block ×6, first 2 shown]
	v_add_f64 v[12:13], v[24:25], -v[104:105]
	v_add_f64 v[20:21], v[26:27], -v[128:129]
	v_add_f64 v[24:25], v[78:79], v[130:131]
	v_add_f64 v[26:27], v[60:61], v[58:59]
	v_add_f64 v[4:5], v[76:77], -v[86:87]
	v_add_f64 v[6:7], v[84:85], -v[62:63]
	;; [unrolled: 1-line block ×6, first 2 shown]
	v_add_f64 v[32:33], v[100:101], v[74:75]
	v_add_f64 v[34:35], v[102:103], v[88:89]
	;; [unrolled: 1-line block ×8, first 2 shown]
	v_add_f64 v[36:37], v[100:101], -v[74:75]
	v_add_f64 v[38:39], v[102:103], -v[88:89]
	;; [unrolled: 1-line block ×8, first 2 shown]
	v_add_f64 v[64:65], v[114:115], v[94:95]
	v_add_f64 v[66:67], v[116:117], v[138:139]
	;; [unrolled: 1-line block ×8, first 2 shown]
	v_add_f64 v[68:69], v[114:115], -v[94:95]
	v_add_f64 v[70:71], v[116:117], -v[138:139]
	;; [unrolled: 1-line block ×8, first 2 shown]
	ds_write_b128 v192, v[0:3] offset:16
	ds_write_b128 v192, v[8:11] offset:32
	;; [unrolled: 1-line block ×24, first 2 shown]
	v_mul_lo_u16 v0, v235, 10
	v_mul_u32_u24_sdwa v4, v207, v191 dst_sel:DWORD dst_unused:UNUSED_PAD src0_sel:WORD_0 src1_sel:DWORD
	v_mov_b32_e32 v30, v219
	s_waitcnt lgkmcnt(0)
	s_barrier
	v_sub_nc_u16 v238, v231, v0
	v_lshrrev_b32_e32 v4, 19, v4
	buffer_gl0_inv
	s_clause 0x2
	global_load_dwordx4 v[184:187], v218, s[8:9]
	global_load_dwordx4 v[24:27], v218, s[8:9] offset:16
	global_load_dwordx4 v[20:23], v218, s[8:9] offset:32
	v_lshlrev_b32_sdwa v16, v190, v238 dst_sel:DWORD dst_unused:UNUSED_PAD src0_sel:DWORD src1_sel:WORD_0
	global_load_dwordx4 v[0:3], v218, s[8:9] offset:48
	buffer_store_dword v4, off, s[24:27], 0 offset:80 ; 4-byte Folded Spill
	v_mul_lo_u16 v17, v4, 10
	s_clause 0x2
	global_load_dwordx4 v[12:15], v16, s[8:9]
	global_load_dwordx4 v[8:11], v16, s[8:9] offset:16
	global_load_dwordx4 v[4:7], v16, s[8:9] offset:32
	buffer_store_dword v30, off, s[24:27], 0 offset:92 ; 4-byte Folded Spill
	buffer_store_dword v31, off, s[24:27], 0 offset:96 ; 4-byte Folded Spill
	v_sub_nc_u16 v199, v207, v17
	v_lshlrev_b32_sdwa v40, v190, v199 dst_sel:DWORD dst_unused:UNUSED_PAD src0_sel:DWORD src1_sel:WORD_0
	v_mul_u32_u24_sdwa v18, v30, v191 dst_sel:DWORD dst_unused:UNUSED_PAD src0_sel:WORD_0 src1_sel:DWORD
	v_lshrrev_b32_e32 v219, 19, v18
	global_load_dwordx4 v[16:19], v16, s[8:9] offset:48
	buffer_store_dword v236, off, s[24:27], 0 offset:16 ; 4-byte Folded Spill
	buffer_store_dword v237, off, s[24:27], 0 offset:20 ; 4-byte Folded Spill
	global_load_dwordx4 v[36:39], v40, s[8:9]
	v_mul_lo_u16 v28, v219, 10
	v_sub_nc_u16 v239, v30, v28
	v_lshlrev_b32_sdwa v48, v190, v239 dst_sel:DWORD dst_unused:UNUSED_PAD src0_sel:DWORD src1_sel:WORD_0
	v_mul_u32_u24_sdwa v29, v236, v191 dst_sel:DWORD dst_unused:UNUSED_PAD src0_sel:WORD_0 src1_sel:DWORD
	v_lshrrev_b32_e32 v233, 19, v29
	s_clause 0x1
	global_load_dwordx4 v[32:35], v40, s[8:9] offset:16
	global_load_dwordx4 v[28:31], v40, s[8:9] offset:32
	buffer_store_dword v237, off, s[24:27], 0 offset:8 ; 4-byte Folded Spill
	buffer_store_dword v238, off, s[24:27], 0 offset:12 ; 4-byte Folded Spill
	s_clause 0x1
	global_load_dwordx4 v[72:75], v40, s[8:9] offset:48
	global_load_dwordx4 v[40:43], v48, s[8:9]
	v_mul_lo_u16 v45, v233, 10
	v_sub_nc_u16 v240, v236, v45
	v_lshlrev_b32_sdwa v49, v190, v240 dst_sel:DWORD dst_unused:UNUSED_PAD src0_sel:DWORD src1_sel:WORD_0
	v_mul_u32_u24_sdwa v44, v237, v191 dst_sel:DWORD dst_unused:UNUSED_PAD src0_sel:WORD_0 src1_sel:DWORD
	v_lshrrev_b32_e32 v241, 19, v44
	s_clause 0x5
	global_load_dwordx4 v[56:59], v48, s[8:9] offset:16
	global_load_dwordx4 v[44:47], v48, s[8:9] offset:32
	;; [unrolled: 1-line block ×3, first 2 shown]
	global_load_dwordx4 v[64:67], v49, s[8:9]
	global_load_dwordx4 v[60:63], v49, s[8:9] offset:16
	global_load_dwordx4 v[52:55], v49, s[8:9] offset:32
	v_mul_lo_u16 v50, v241, 10
	v_sub_nc_u16 v242, v237, v50
	v_lshlrev_b32_sdwa v88, v190, v242 dst_sel:DWORD dst_unused:UNUSED_PAD src0_sel:DWORD src1_sel:WORD_0
	s_clause 0x4
	global_load_dwordx4 v[48:51], v49, s[8:9] offset:48
	global_load_dwordx4 v[76:79], v88, s[8:9]
	global_load_dwordx4 v[80:83], v88, s[8:9] offset:16
	global_load_dwordx4 v[84:87], v88, s[8:9] offset:32
	;; [unrolled: 1-line block ×3, first 2 shown]
	ds_read_b128 v[188:191], v255 offset:12960
	ds_read_b128 v[180:183], v255 offset:25920
	;; [unrolled: 1-line block ×24, first 2 shown]
	s_waitcnt vmcnt(23) lgkmcnt(23)
	v_mul_f64 v[195:196], v[190:191], v[186:187]
	s_waitcnt vmcnt(22) lgkmcnt(22)
	v_mul_f64 v[216:217], v[182:183], v[26:27]
	;; [unrolled: 2-line block ×4, first 2 shown]
	v_mul_f64 v[212:213], v[120:121], v[14:15]
	s_waitcnt vmcnt(18) lgkmcnt(19)
	v_mul_f64 v[200:201], v[112:113], v[10:11]
	s_waitcnt lgkmcnt(17)
	v_mul_f64 v[214:215], v[154:155], v[2:3]
	v_mul_f64 v[26:27], v[180:181], v[26:27]
	;; [unrolled: 1-line block ×3, first 2 shown]
	s_waitcnt vmcnt(17)
	v_mul_f64 v[202:203], v[106:107], v[6:7]
	s_waitcnt vmcnt(16) lgkmcnt(16)
	v_mul_f64 v[220:221], v[108:109], v[18:19]
	s_waitcnt vmcnt(11) lgkmcnt(14)
	v_mul_f64 v[222:223], v[94:95], v[42:43]
	v_mul_f64 v[186:187], v[188:189], v[186:187]
	;; [unrolled: 1-line block ×3, first 2 shown]
	v_fma_f64 v[197:198], v[188:189], v[184:185], v[195:196]
	v_mul_f64 v[195:196], v[114:115], v[10:11]
	v_fma_f64 v[180:181], v[180:181], v[24:25], v[216:217]
	v_mul_f64 v[216:217], v[104:105], v[6:7]
	;; [unrolled: 2-line block ×4, first 2 shown]
	v_fma_f64 v[120:121], v[120:121], v[12:13], v[210:211]
	v_fma_f64 v[122:123], v[122:123], v[12:13], -v[212:213]
	v_mul_f64 v[12:13], v[100:101], v[38:39]
	s_waitcnt lgkmcnt(13)
	v_mul_f64 v[210:211], v[130:131], v[34:35]
	v_mul_f64 v[34:35], v[128:129], v[34:35]
	s_waitcnt lgkmcnt(11)
	v_mul_f64 v[212:213], v[134:135], v[30:31]
	v_fma_f64 v[114:115], v[114:115], v[8:9], -v[200:201]
	s_waitcnt lgkmcnt(9)
	v_mul_f64 v[200:201], v[136:137], v[74:75]
	v_fma_f64 v[182:183], v[182:183], v[24:25], -v[26:27]
	v_fma_f64 v[14:15], v[178:179], v[20:21], -v[22:23]
	;; [unrolled: 1-line block ×3, first 2 shown]
	ds_read_b128 v[188:191], v255
	ds_read_b128 v[184:187], v255 offset:2160
	v_fma_f64 v[178:179], v[154:155], v[0:1], -v[2:3]
	ds_read_b128 v[24:27], v255 offset:4320
	ds_read_b128 v[20:23], v255 offset:6480
	;; [unrolled: 1-line block ×4, first 2 shown]
	v_fma_f64 v[112:113], v[112:113], v[8:9], v[195:196]
	v_mul_f64 v[8:9], v[132:133], v[30:31]
	v_mul_f64 v[195:196], v[138:139], v[74:75]
	v_fma_f64 v[74:75], v[104:105], v[4:5], v[202:203]
	v_fma_f64 v[38:39], v[106:107], v[4:5], -v[216:217]
	v_mul_f64 v[4:5], v[92:93], v[42:43]
	v_fma_f64 v[18:19], v[108:109], v[16:17], v[193:194]
	v_fma_f64 v[30:31], v[110:111], v[16:17], -v[220:221]
	v_add_f64 v[224:225], v[122:123], -v[114:115]
	v_fma_f64 v[42:43], v[134:135], v[28:29], -v[8:9]
	v_add_f64 v[226:227], v[18:19], -v[74:75]
	v_add_f64 v[243:244], v[30:31], -v[38:39]
	s_waitcnt vmcnt(10)
	v_mul_f64 v[104:105], v[98:99], v[58:59]
	v_mul_f64 v[106:107], v[96:97], v[58:59]
	s_waitcnt vmcnt(9)
	v_mul_f64 v[202:203], v[118:119], v[46:47]
	v_mul_f64 v[16:17], v[116:117], v[46:47]
	s_waitcnt vmcnt(8) lgkmcnt(14)
	v_mul_f64 v[108:109], v[126:127], v[70:71]
	v_mul_f64 v[110:111], v[124:125], v[70:71]
	s_waitcnt vmcnt(7) lgkmcnt(13)
	v_mul_f64 v[193:194], v[142:143], v[66:67]
	v_fma_f64 v[58:59], v[100:101], v[36:37], v[214:215]
	v_fma_f64 v[70:71], v[102:103], v[36:37], -v[12:13]
	v_mul_f64 v[12:13], v[140:141], v[66:67]
	s_waitcnt vmcnt(6) lgkmcnt(11)
	v_mul_f64 v[100:101], v[150:151], v[62:63]
	v_mul_f64 v[102:103], v[148:149], v[62:63]
	s_waitcnt vmcnt(5) lgkmcnt(9)
	v_mul_f64 v[214:215], v[170:171], v[54:55]
	v_fma_f64 v[62:63], v[128:129], v[32:33], v[210:211]
	v_fma_f64 v[66:67], v[130:131], v[32:33], -v[34:35]
	v_mul_f64 v[32:33], v[168:169], v[54:55]
	s_waitcnt vmcnt(4) lgkmcnt(7)
	v_mul_f64 v[128:129], v[174:175], v[50:51]
	v_mul_f64 v[130:131], v[172:173], v[50:51]
	s_waitcnt vmcnt(3)
	v_mul_f64 v[210:211], v[146:147], v[78:79]
	v_fma_f64 v[46:47], v[132:133], v[28:29], v[212:213]
	v_mul_f64 v[28:29], v[144:145], v[78:79]
	s_waitcnt vmcnt(2)
	v_mul_f64 v[132:133], v[158:159], v[82:83]
	v_mul_f64 v[134:135], v[156:157], v[82:83]
	s_waitcnt vmcnt(1)
	v_mul_f64 v[212:213], v[162:163], v[86:87]
	v_fma_f64 v[34:35], v[136:137], v[72:73], v[195:196]
	v_fma_f64 v[36:37], v[138:139], v[72:73], -v[200:201]
	v_mul_f64 v[136:137], v[160:161], v[86:87]
	s_waitcnt vmcnt(0) lgkmcnt(6)
	v_mul_f64 v[138:139], v[166:167], v[90:91]
	v_mul_f64 v[195:196], v[164:165], v[90:91]
	v_fma_f64 v[78:79], v[92:93], v[40:41], v[222:223]
	v_fma_f64 v[72:73], v[94:95], v[40:41], -v[4:5]
	v_fma_f64 v[82:83], v[96:97], v[56:57], v[104:105]
	v_fma_f64 v[56:57], v[98:99], v[56:57], -v[106:107]
	;; [unrolled: 2-line block ×12, first 2 shown]
	v_add_f64 v[106:107], v[180:181], v[10:11]
	v_add_f64 v[108:109], v[182:183], v[14:15]
	;; [unrolled: 1-line block ×16, first 2 shown]
	v_add_f64 v[110:111], v[197:198], -v[180:181]
	v_add_f64 v[124:125], v[208:209], v[178:179]
	v_add_f64 v[134:135], v[176:177], -v[10:11]
	v_add_f64 v[136:137], v[208:209], -v[182:183]
	;; [unrolled: 1-line block ×4, first 2 shown]
	s_waitcnt lgkmcnt(5)
	v_fma_f64 v[126:127], v[106:107], -0.5, v[188:189]
	v_fma_f64 v[128:129], v[108:109], -0.5, v[190:191]
	;; [unrolled: 1-line block ×3, first 2 shown]
	v_add_f64 v[106:107], v[76:77], v[48:49]
	v_add_f64 v[108:109], v[80:81], v[52:53]
	s_waitcnt lgkmcnt(4)
	v_fma_f64 v[174:175], v[170:171], -0.5, v[186:187]
	v_fma_f64 v[170:171], v[158:159], -0.5, v[184:185]
	v_add_f64 v[116:117], v[68:69], v[28:29]
	v_add_f64 v[158:159], v[92:93], v[32:33]
	v_add_f64 v[142:143], v[10:11], -v[176:177]
	v_add_f64 v[144:145], v[182:183], -v[208:209]
	;; [unrolled: 1-line block ×7, first 2 shown]
	v_add_f64 v[84:85], v[184:185], v[120:121]
	v_add_f64 v[96:97], v[186:187], v[122:123]
	v_add_f64 v[203:204], v[120:121], -v[112:113]
	v_add_f64 v[195:196], v[66:67], v[42:43]
	v_add_f64 v[222:223], v[72:73], v[8:9]
	s_waitcnt lgkmcnt(3)
	v_add_f64 v[98:99], v[24:25], v[58:59]
	v_add_f64 v[231:232], v[90:91], v[54:55]
	v_fma_f64 v[172:173], v[168:169], -0.5, v[184:185]
	v_fma_f64 v[168:169], v[160:161], -0.5, v[186:187]
	;; [unrolled: 1-line block ×5, first 2 shown]
	v_add_f64 v[24:25], v[58:59], -v[62:63]
	v_add_f64 v[192:193], v[34:35], -v[46:47]
	s_waitcnt lgkmcnt(2)
	v_fma_f64 v[214:215], v[210:211], -0.5, v[20:21]
	v_fma_f64 v[210:211], v[228:229], -0.5, v[20:21]
	;; [unrolled: 1-line block ×3, first 2 shown]
	s_waitcnt lgkmcnt(1)
	v_fma_f64 v[166:167], v[4:5], -0.5, v[2:3]
	v_fma_f64 v[184:185], v[130:131], -0.5, v[0:1]
	;; [unrolled: 1-line block ×3, first 2 shown]
	s_waitcnt lgkmcnt(0)
	v_add_f64 v[4:5], v[152:153], v[68:69]
	v_fma_f64 v[162:163], v[106:107], -0.5, v[152:153]
	v_fma_f64 v[132:133], v[108:109], -0.5, v[154:155]
	;; [unrolled: 1-line block ×4, first 2 shown]
	v_add_f64 v[228:229], v[154:155], v[92:93]
	v_add_f64 v[152:153], v[82:83], -v[78:79]
	v_add_f64 v[154:155], v[50:51], -v[6:7]
	v_add_f64 v[88:89], v[188:189], v[197:198]
	v_add_f64 v[94:95], v[190:191], v[208:209]
	;; [unrolled: 1-line block ×5, first 2 shown]
	v_fma_f64 v[124:125], v[124:125], -0.5, v[190:191]
	v_fma_f64 v[212:213], v[195:196], -0.5, v[26:27]
	;; [unrolled: 1-line block ×3, first 2 shown]
	v_add_f64 v[222:223], v[0:1], v[86:87]
	v_fma_f64 v[188:189], v[231:232], -0.5, v[0:1]
	v_add_f64 v[194:195], v[2:3], v[64:65]
	v_add_f64 v[20:21], v[110:111], v[134:135]
	;; [unrolled: 1-line block ×3, first 2 shown]
	v_add_f64 v[136:137], v[56:57], -v[72:73]
	v_add_f64 v[22:23], v[140:141], v[142:143]
	v_add_f64 v[140:141], v[40:41], -v[8:9]
	v_add_f64 v[108:109], v[144:145], v[146:147]
	;; [unrolled: 2-line block ×6, first 2 shown]
	v_add_f64 v[164:165], v[86:87], -v[90:91]
	v_add_f64 v[203:204], v[12:13], -v[54:55]
	;; [unrolled: 1-line block ×3, first 2 shown]
	v_add_f64 v[134:135], v[24:25], v[192:193]
	v_add_f64 v[24:25], v[54:55], -v[12:13]
	v_add_f64 v[192:193], v[64:65], -v[60:61]
	v_add_f64 v[138:139], v[152:153], v[154:155]
	v_add_f64 v[152:153], v[16:17], -v[44:45]
	v_add_f64 v[154:155], v[60:61], -v[64:65]
	v_add_f64 v[245:246], v[62:63], -v[58:59]
	v_add_f64 v[247:248], v[46:47], -v[34:35]
	v_add_f64 v[249:250], v[66:67], -v[70:71]
	v_add_f64 v[150:151], v[136:137], v[140:141]
	v_add_f64 v[251:252], v[42:43], -v[36:37]
	v_add_f64 v[253:254], v[70:71], -v[66:67]
	;; [unrolled: 1-line block ×3, first 2 shown]
	v_add_f64 v[136:137], v[142:143], v[144:145]
	v_add_f64 v[144:145], v[44:45], -v[16:17]
	v_add_f64 v[94:95], v[94:95], v[182:183]
	v_mov_b32_e32 v243, 0x147b
	v_add_f64 v[148:149], v[148:149], v[156:157]
	v_add_f64 v[156:157], v[68:69], -v[76:77]
	v_add_f64 v[96:97], v[96:97], v[114:115]
	v_add_f64 v[140:141], v[164:165], v[203:204]
	v_add_f64 v[164:165], v[28:29], -v[48:49]
	v_add_f64 v[203:204], v[76:77], -v[68:69]
	v_add_f64 v[142:143], v[224:225], v[24:25]
	v_add_f64 v[24:25], v[32:33], -v[52:53]
	v_add_f64 v[84:85], v[84:85], v[112:113]
	v_add_f64 v[152:153], v[192:193], v[152:153]
	v_add_f64 v[192:193], v[92:93], -v[80:81]
	v_add_f64 v[104:105], v[104:105], v[66:67]
	v_add_f64 v[110:111], v[245:246], v[247:248]
	;; [unrolled: 1-line block ×3, first 2 shown]
	v_add_f64 v[182:183], v[182:183], -v[14:15]
	v_add_f64 v[116:117], v[249:250], v[251:252]
	v_add_f64 v[114:115], v[114:115], -v[38:39]
	v_add_f64 v[146:147], v[253:254], v[205:206]
	;; [unrolled: 2-line block ×3, first 2 shown]
	v_add_f64 v[14:15], v[94:95], v[14:15]
	v_add_f64 v[94:95], v[52:53], -v[32:33]
	v_add_f64 v[122:123], v[122:123], -v[30:31]
	;; [unrolled: 1-line block ×3, first 2 shown]
	v_add_f64 v[100:101], v[100:101], v[82:83]
	v_add_f64 v[70:71], v[70:71], -v[36:37]
	v_add_f64 v[144:145], v[156:157], v[164:165]
	v_add_f64 v[164:165], v[48:49], -v[28:29]
	v_add_f64 v[102:103], v[102:103], v[56:57]
	v_add_f64 v[222:223], v[222:223], v[90:91]
	v_add_f64 v[194:195], v[194:195], v[60:61]
	v_add_f64 v[224:225], v[228:229], v[80:81]
	v_add_f64 v[156:157], v[192:193], v[24:25]
	s_clause 0x1
	buffer_load_dword v25, off, s[24:27], 0 offset:76
	buffer_load_dword v192, off, s[24:27], 0 offset:88
	v_mov_b32_e32 v24, 0x320
	v_mov_b32_e32 v193, 4
	v_add_f64 v[66:67], v[66:67], -v[42:43]
	v_add_f64 v[62:63], v[62:63], -v[46:47]
	v_add_f64 v[82:83], v[82:83], -v[50:51]
	v_add_f64 v[78:79], v[78:79], -v[6:7]
	v_lshlrev_b32_sdwa v196, v193, v238 dst_sel:DWORD dst_unused:UNUSED_PAD src0_sel:DWORD src1_sel:WORD_0
	v_add_f64 v[72:73], v[72:73], -v[8:9]
	v_add_f64 v[74:75], v[84:85], v[74:75]
	v_add_f64 v[96:97], v[96:97], v[38:39]
	v_add_f64 v[42:43], v[104:105], v[42:43]
	v_add_f64 v[46:47], v[98:99], v[46:47]
	v_add_f64 v[86:87], v[86:87], -v[12:13]
	v_add_f64 v[64:65], v[64:65], -v[16:17]
	v_add_f64 v[164:165], v[203:204], v[164:165]
	s_clause 0x4
	buffer_load_dword v203, off, s[24:27], 0 offset:72
	buffer_load_dword v251, off, s[24:27], 0
	buffer_load_dword v252, off, s[24:27], 0 offset:4
	buffer_load_dword v244, off, s[24:27], 0 offset:92
	;; [unrolled: 1-line block ×3, first 2 shown]
	v_add_f64 v[90:91], v[90:91], -v[54:55]
	v_add_f64 v[60:61], v[60:61], -v[44:45]
	;; [unrolled: 1-line block ×3, first 2 shown]
	v_add_f64 v[4:5], v[4:5], v[76:77]
	v_add_f64 v[76:77], v[76:77], -v[48:49]
	v_fma_f64 v[98:99], v[112:113], s[6:7], v[174:175]
	v_fma_f64 v[174:175], v[112:113], s[10:11], v[174:175]
	;; [unrolled: 1-line block ×4, first 2 shown]
	v_add_f64 v[50:51], v[100:101], v[50:51]
	v_fma_f64 v[100:101], v[120:121], s[10:11], v[168:169]
	v_fma_f64 v[168:169], v[120:121], s[6:7], v[168:169]
	v_add_f64 v[102:103], v[102:103], v[40:41]
	v_add_f64 v[54:55], v[222:223], v[54:55]
	;; [unrolled: 1-line block ×3, first 2 shown]
	v_fma_f64 v[194:195], v[70:71], s[6:7], v[216:217]
	v_fma_f64 v[216:217], v[70:71], s[10:11], v[216:217]
	v_add_f64 v[38:39], v[74:75], v[18:19]
	v_fma_f64 v[18:19], v[72:73], s[6:7], v[210:211]
	v_fma_f64 v[74:75], v[82:83], s[6:7], v[190:191]
	v_add_f64 v[36:37], v[42:43], v[36:37]
	v_fma_f64 v[42:43], v[78:79], s[10:11], v[186:187]
	v_mov_b32_e32 v200, 5
	v_add_f64 v[48:49], v[4:5], v[48:49]
	v_fma_f64 v[98:99], v[120:121], s[4:5], v[98:99]
	v_fma_f64 v[120:121], v[120:121], s[0:1], v[174:175]
	;; [unrolled: 1-line block ×7, first 2 shown]
	v_add_f64 v[4:5], v[50:51], v[6:7]
	v_add_f64 v[6:7], v[102:103], v[8:9]
	;; [unrolled: 1-line block ×4, first 2 shown]
	v_fma_f64 v[48:49], v[26:27], s[12:13], v[98:99]
	v_fma_f64 v[174:175], v[76:77], s[4:5], v[174:175]
	;; [unrolled: 1-line block ×4, first 2 shown]
	s_waitcnt vmcnt(6)
	v_mul_u32_u24_sdwa v24, v25, v24 dst_sel:DWORD dst_unused:UNUSED_PAD src0_sel:WORD_0 src1_sel:DWORD
	v_lshlrev_b32_sdwa v25, v193, v230 dst_sel:DWORD dst_unused:UNUSED_PAD src0_sel:DWORD src1_sel:BYTE_0
	s_waitcnt vmcnt(5)
	v_mul_u32_u24_e32 v192, 0x320, v192
	v_add3_u32 v206, 0, v24, v25
	buffer_load_dword v24, off, s[24:27], 0 offset:80 ; 4-byte Folded Reload
	v_add3_u32 v218, 0, v192, v196
	v_lshlrev_b32_sdwa v25, v193, v199 dst_sel:DWORD dst_unused:UNUSED_PAD src0_sel:DWORD src1_sel:WORD_0
	v_mul_u32_u24_e32 v196, 0x320, v219
	v_lshlrev_b32_sdwa v199, v193, v239 dst_sel:DWORD dst_unused:UNUSED_PAD src0_sel:DWORD src1_sel:WORD_0
	v_add3_u32 v236, 0, v196, v199
	v_lshlrev_b32_sdwa v196, v193, v240 dst_sel:DWORD dst_unused:UNUSED_PAD src0_sel:DWORD src1_sel:WORD_0
	s_clause 0x1
	buffer_load_dword v239, off, s[24:27], 0 offset:24
	buffer_load_dword v240, off, s[24:27], 0 offset:28
	s_waitcnt vmcnt(7)
	v_mul_lo_u16 v204, v203, 41
	s_waitcnt vmcnt(6)
	v_lshrrev_b16 v205, 1, v251
	v_lshrrev_b16 v203, 1, v207
	v_mul_u32_u24_e32 v199, 0x320, v241
	s_waitcnt vmcnt(0)
	s_waitcnt_vscnt null, 0x0
	v_lshrrev_b16 v232, 11, v204
	v_mul_u32_u24_sdwa v204, v205, v243 dst_sel:DWORD dst_unused:UNUSED_PAD src0_sel:WORD_0 src1_sel:DWORD
	v_mul_u32_u24_sdwa v205, v203, v243 dst_sel:DWORD dst_unused:UNUSED_PAD src0_sel:WORD_0 src1_sel:DWORD
	s_barrier
	buffer_gl0_inv
	v_lshrrev_b16 v192, 1, v244
	v_lshrrev_b32_e32 v231, 17, v204
	v_lshlrev_b32_sdwa v204, v193, v242 dst_sel:DWORD dst_unused:UNUSED_PAD src0_sel:DWORD src1_sel:WORD_0
	v_add3_u32 v237, 0, v199, v204
	v_mul_u32_u24_e32 v24, 0x320, v24
	v_add3_u32 v219, 0, v24, v25
	v_mul_lo_u16 v24, v232, 50
	v_mul_u32_u24_e32 v25, 0x320, v233
	v_sub_nc_u16 v230, v239, v24
	v_add3_u32 v233, 0, v25, v196
	v_add_f64 v[24:25], v[88:89], v[180:181]
	v_add_f64 v[196:197], v[197:198], -v[176:177]
	v_add_f64 v[180:181], v[180:181], -v[10:11]
	v_lshrrev_b32_e32 v89, 17, v205
	v_add_f64 v[204:205], v[208:209], -v[178:179]
	v_add_f64 v[198:199], v[58:59], -v[34:35]
	;; [unrolled: 1-line block ×3, first 2 shown]
	v_add_f64 v[58:59], v[14:15], v[178:179]
	v_fma_f64 v[178:179], v[62:63], s[6:7], v[220:221]
	v_fma_f64 v[220:221], v[62:63], s[10:11], v[220:221]
	v_add_f64 v[40:41], v[96:97], v[30:31]
	v_fma_f64 v[96:97], v[82:83], s[10:11], v[190:191]
	v_fma_f64 v[30:31], v[72:73], s[10:11], v[210:211]
	;; [unrolled: 3-line block ×3, first 2 shown]
	v_fma_f64 v[190:191], v[60:61], s[10:11], v[184:185]
	v_fma_f64 v[188:189], v[64:65], s[10:11], v[188:189]
	;; [unrolled: 1-line block ×3, first 2 shown]
	v_lshlrev_b32_sdwa v238, v200, v230 dst_sel:DWORD dst_unused:UNUSED_PAD src0_sel:DWORD src1_sel:BYTE_0
	v_mul_lo_u16 v88, v231, 50
	v_add_f64 v[10:11], v[24:25], v[10:11]
	v_add_f64 v[24:25], v[80:81], -v[92:93]
	v_add_f64 v[92:93], v[92:93], -v[32:33]
	;; [unrolled: 1-line block ×3, first 2 shown]
	v_fma_f64 v[14:15], v[204:205], s[10:11], v[126:127]
	v_fma_f64 v[84:85], v[180:181], s[6:7], v[124:125]
	v_fma_f64 v[124:125], v[180:181], s[10:11], v[124:125]
	v_add_f64 v[52:53], v[224:225], v[52:53]
	v_fma_f64 v[222:223], v[198:199], s[10:11], v[212:213]
	v_fma_f64 v[212:213], v[198:199], s[6:7], v[212:213]
	;; [unrolled: 1-line block ×4, first 2 shown]
	v_sub_nc_u16 v88, v251, v88
	v_fma_f64 v[186:187], v[60:61], s[0:1], v[186:187]
	v_fma_f64 v[190:191], v[64:65], s[0:1], v[190:191]
	v_fma_f64 v[188:189], v[60:61], s[4:5], v[188:189]
	v_fma_f64 v[184:185], v[64:65], s[4:5], v[184:185]
	v_add_f64 v[56:57], v[10:11], v[176:177]
	v_add_f64 v[226:227], v[24:25], v[94:95]
	v_fma_f64 v[10:11], v[196:197], s[10:11], v[128:129]
	v_fma_f64 v[94:95], v[196:197], s[6:7], v[128:129]
	;; [unrolled: 1-line block ×19, first 2 shown]
	ds_write_b128 v206, v[56:59]
	v_fma_f64 v[56:57], v[158:159], s[12:13], v[100:101]
	v_fma_f64 v[210:211], v[180:181], s[4:5], v[10:11]
	;; [unrolled: 1-line block ×14, first 2 shown]
	v_add_f64 v[14:15], v[52:53], v[32:33]
	v_fma_f64 v[32:33], v[66:67], s[0:1], v[194:195]
	v_fma_f64 v[168:169], v[70:71], s[0:1], v[176:177]
	;; [unrolled: 1-line block ×17, first 2 shown]
	v_add_f64 v[10:11], v[44:45], v[16:17]
	v_fma_f64 v[166:167], v[90:91], s[0:1], v[166:167]
	v_fma_f64 v[86:87], v[86:87], s[0:1], v[160:161]
	;; [unrolled: 1-line block ×52, first 2 shown]
	ds_write_b128 v206, v[16:19] offset:160
	ds_write_b128 v206, v[42:45] offset:320
	ds_write_b128 v206, v[20:23] offset:480
	ds_write_b128 v206, v[28:31] offset:640
	ds_write_b128 v218, v[38:41]
	ds_write_b128 v218, v[54:57] offset:160
	ds_write_b128 v218, v[46:49] offset:320
	ds_write_b128 v218, v[50:53] offset:480
	ds_write_b128 v218, v[0:3] offset:640
	ds_write_b128 v219, v[34:37]
	ds_write_b128 v219, v[62:65] offset:160
	ds_write_b128 v219, v[24:27] offset:320
	ds_write_b128 v219, v[58:61] offset:480
	ds_write_b128 v219, v[66:69] offset:640
	ds_write_b128 v236, v[4:7]
	ds_write_b128 v236, v[78:81] offset:160
	ds_write_b128 v236, v[70:73] offset:320
	ds_write_b128 v236, v[74:77] offset:480
	ds_write_b128 v236, v[82:85] offset:640
	ds_write_b128 v233, v[8:11]
	ds_write_b128 v233, v[90:93] offset:160
	ds_write_b128 v233, v[98:101] offset:320
	ds_write_b128 v233, v[102:105] offset:480
	ds_write_b128 v233, v[94:97] offset:640
	ds_write_b128 v237, v[12:15]
	ds_write_b128 v237, v[106:109] offset:160
	ds_write_b128 v237, v[114:117] offset:320
	;; [unrolled: 1-line block ×4, first 2 shown]
	s_waitcnt lgkmcnt(0)
	s_barrier
	buffer_gl0_inv
	s_clause 0x1
	global_load_dwordx4 v[0:3], v238, s[8:9] offset:640
	global_load_dwordx4 v[4:7], v238, s[8:9] offset:656
	s_clause 0x1
	buffer_load_dword v26, off, s[24:27], 0 offset:16
	buffer_load_dword v27, off, s[24:27], 0 offset:20
	v_mul_u32_u24_sdwa v8, v192, v243 dst_sel:DWORD dst_unused:UNUSED_PAD src0_sel:WORD_0 src1_sel:DWORD
	v_mul_lo_u16 v9, v89, 50
	v_lshlrev_b32_sdwa v12, v200, v88 dst_sel:DWORD dst_unused:UNUSED_PAD src0_sel:DWORD src1_sel:WORD_0
	v_mov_b32_e32 v94, 0xda75
	v_mov_b32_e32 v97, v252
	v_lshrrev_b32_e32 v84, 17, v8
	v_sub_nc_u16 v99, v207, v9
	s_clause 0x1
	global_load_dwordx4 v[8:11], v12, s[8:9] offset:640
	global_load_dwordx4 v[12:15], v12, s[8:9] offset:656
	s_clause 0x1
	buffer_load_dword v34, off, s[24:27], 0 offset:8
	buffer_load_dword v35, off, s[24:27], 0 offset:12
	v_mul_lo_u16 v17, v84, 50
	v_lshlrev_b32_sdwa v20, v200, v99 dst_sel:DWORD dst_unused:UNUSED_PAD src0_sel:DWORD src1_sel:WORD_0
	v_mov_b32_e32 v98, 0x960
	v_mul_u32_u24_sdwa v112, v203, v94 dst_sel:DWORD dst_unused:UNUSED_PAD src0_sel:WORD_0 src1_sel:DWORD
	v_mul_u32_u24_sdwa v113, v192, v94 dst_sel:DWORD dst_unused:UNUSED_PAD src0_sel:WORD_0 src1_sel:DWORD
	v_sub_nc_u16 v100, v244, v17
	v_lshlrev_b32_sdwa v123, v193, v230 dst_sel:DWORD dst_unused:UNUSED_PAD src0_sel:DWORD src1_sel:BYTE_0
	v_mul_u32_u24_sdwa v118, v232, v98 dst_sel:DWORD dst_unused:UNUSED_PAD src0_sel:WORD_0 src1_sel:DWORD
	v_lshrrev_b32_e32 v98, 22, v112
	v_mul_u32_u24_e32 v112, 0x960, v231
	v_lshlrev_b32_sdwa v28, v200, v100 dst_sel:DWORD dst_unused:UNUSED_PAD src0_sel:DWORD src1_sel:WORD_0
	v_lshlrev_b32_sdwa v99, v193, v99 dst_sel:DWORD dst_unused:UNUSED_PAD src0_sel:DWORD src1_sel:WORD_0
	v_add3_u32 v218, 0, v118, v123
	v_lshlrev_b32_sdwa v100, v193, v100 dst_sel:DWORD dst_unused:UNUSED_PAD src0_sel:DWORD src1_sel:WORD_0
	s_mov_b32 s4, 0xe8584caa
	s_mov_b32 s5, 0xbfebb67a
	;; [unrolled: 1-line block ×4, first 2 shown]
	s_waitcnt vmcnt(5)
	v_lshrrev_b16 v82, 1, v26
	v_mov_b32_e32 v124, v26
	v_mul_u32_u24_sdwa v16, v82, v243 dst_sel:DWORD dst_unused:UNUSED_PAD src0_sel:WORD_0 src1_sel:DWORD
	v_mul_u32_u24_sdwa v114, v82, v94 dst_sel:DWORD dst_unused:UNUSED_PAD src0_sel:WORD_0 src1_sel:DWORD
	v_lshrrev_b32_e32 v85, 17, v16
	s_clause 0x1
	global_load_dwordx4 v[16:19], v20, s[8:9] offset:640
	global_load_dwordx4 v[20:23], v20, s[8:9] offset:656
	s_clause 0x1
	buffer_load_dword v44, off, s[24:27], 0 offset:40
	buffer_load_dword v45, off, s[24:27], 0 offset:44
	s_waitcnt vmcnt(5)
	v_lshrrev_b16 v83, 1, v34
	v_mul_lo_u16 v25, v85, 50
	v_mov_b32_e32 v125, v34
	v_mul_u32_u24_sdwa v24, v83, v243 dst_sel:DWORD dst_unused:UNUSED_PAD src0_sel:WORD_0 src1_sel:DWORD
	v_sub_nc_u16 v101, v26, v25
	v_mul_u32_u24_sdwa v115, v83, v94 dst_sel:DWORD dst_unused:UNUSED_PAD src0_sel:WORD_0 src1_sel:DWORD
	v_lshrrev_b32_e32 v86, 17, v24
	s_clause 0x1
	global_load_dwordx4 v[24:27], v28, s[8:9] offset:640
	global_load_dwordx4 v[28:31], v28, s[8:9] offset:656
	s_clause 0x1
	buffer_load_dword v48, off, s[24:27], 0 offset:48
	buffer_load_dword v49, off, s[24:27], 0 offset:52
	v_lshlrev_b32_sdwa v36, v200, v101 dst_sel:DWORD dst_unused:UNUSED_PAD src0_sel:DWORD src1_sel:WORD_0
	v_mul_lo_u16 v33, v86, 50
	s_clause 0x1
	buffer_load_dword v253, off, s[24:27], 0 offset:56
	buffer_load_dword v254, off, s[24:27], 0 offset:60
	v_lshlrev_b32_sdwa v101, v193, v101 dst_sel:DWORD dst_unused:UNUSED_PAD src0_sel:DWORD src1_sel:WORD_0
	v_sub_nc_u16 v102, v34, v33
	v_lshlrev_b32_sdwa v42, v200, v102 dst_sel:DWORD dst_unused:UNUSED_PAD src0_sel:DWORD src1_sel:WORD_0
	v_lshlrev_b32_sdwa v102, v193, v102 dst_sel:DWORD dst_unused:UNUSED_PAD src0_sel:DWORD src1_sel:WORD_0
	s_waitcnt vmcnt(7)
	v_lshrrev_b16 v87, 1, v44
	v_mov_b32_e32 v95, v44
	v_mul_u32_u24_sdwa v32, v87, v243 dst_sel:DWORD dst_unused:UNUSED_PAD src0_sel:WORD_0 src1_sel:DWORD
	v_mul_u32_u24_sdwa v87, v87, v94 dst_sel:DWORD dst_unused:UNUSED_PAD src0_sel:WORD_0 src1_sel:DWORD
	v_lshrrev_b32_e32 v91, 17, v32
	global_load_dwordx4 v[32:35], v36, s[8:9] offset:640
	s_clause 0x1
	buffer_load_dword v37, off, s[24:27], 0 offset:64
	buffer_load_dword v38, off, s[24:27], 0 offset:68
	s_waitcnt vmcnt(6)
	v_lshrrev_b16 v90, 1, v48
	v_mul_lo_u16 v41, v91, 50
	v_mov_b32_e32 v127, v48
	s_waitcnt vmcnt(4)
	v_lshrrev_b16 v92, 1, v253
	v_mov_b32_e32 v126, v253
	v_mul_u32_u24_sdwa v40, v90, v243 dst_sel:DWORD dst_unused:UNUSED_PAD src0_sel:WORD_0 src1_sel:DWORD
	v_sub_nc_u16 v103, v44, v41
	v_mul_u32_u24_sdwa v90, v90, v94 dst_sel:DWORD dst_unused:UNUSED_PAD src0_sel:WORD_0 src1_sel:DWORD
	v_mul_u32_u24_sdwa v116, v92, v94 dst_sel:DWORD dst_unused:UNUSED_PAD src0_sel:WORD_0 src1_sel:DWORD
	global_load_dwordx4 v[44:47], v42, s[8:9] offset:640
	v_lshrrev_b32_e32 v107, 17, v40
	v_mul_u32_u24_sdwa v40, v92, v243 dst_sel:DWORD dst_unused:UNUSED_PAD src0_sel:WORD_0 src1_sel:DWORD
	v_lshrrev_b32_e32 v92, 22, v90
	v_lshrrev_b32_e32 v90, 22, v116
	v_mul_u32_u24_e32 v116, 0x960, v86
	v_mul_lo_u16 v41, v107, 50
	v_lshrrev_b32_e32 v108, 17, v40
	v_lshlrev_b32_sdwa v40, v200, v103 dst_sel:DWORD dst_unused:UNUSED_PAD src0_sel:DWORD src1_sel:WORD_0
	v_mul_lo_u16 v121, 0x96, v90
	v_mul_u32_u24_e32 v107, 0x960, v107
	v_sub_nc_u16 v104, v48, v41
	v_mul_lo_u16 v41, v108, 50
	v_mul_u32_u24_e32 v108, 0x960, v108
	v_mul_lo_u16 v120, 0x96, v92
	v_lshlrev_b32_sdwa v103, v193, v103 dst_sel:DWORD dst_unused:UNUSED_PAD src0_sel:DWORD src1_sel:WORD_0
	v_lshlrev_b32_sdwa v48, v200, v104 dst_sel:DWORD dst_unused:UNUSED_PAD src0_sel:DWORD src1_sel:WORD_0
	v_sub_nc_u16 v105, v253, v41
	v_mov_b32_e32 v253, v239
	v_lshlrev_b32_sdwa v104, v193, v104 dst_sel:DWORD dst_unused:UNUSED_PAD src0_sel:DWORD src1_sel:WORD_0
	v_add3_u32 v233, 0, v116, v102
	v_lshlrev_b32_sdwa v50, v200, v105 dst_sel:DWORD dst_unused:UNUSED_PAD src0_sel:DWORD src1_sel:WORD_0
	v_add_nc_u32_e32 v81, -15, v253
	v_cmp_gt_u32_e64 s0, 15, v253
	v_lshlrev_b32_e32 v80, 1, v253
	v_lshlrev_b32_sdwa v105, v193, v105 dst_sel:DWORD dst_unused:UNUSED_PAD src0_sel:DWORD src1_sel:WORD_0
	v_add3_u32 v235, 0, v107, v104
	v_cndmask_b32_e64 v96, v81, v251, s0
	v_mov_b32_e32 v81, v252
	v_add3_u32 v236, 0, v108, v105
	v_lshlrev_b32_e32 v251, 1, v251
	v_lshlrev_b64 v[82:83], 4, v[80:81]
	v_lshrrev_b32_e32 v81, 22, v115
	v_mul_u32_u24_e32 v115, 0x960, v85
	v_add_co_u32 v82, s0, s8, v82
	v_add_co_ci_u32_e64 v83, s0, s9, v83, s0
	v_add3_u32 v232, 0, v115, v101
	s_waitcnt vmcnt(2)
	v_mov_b32_e32 v254, v37
	s_clause 0x2
	global_load_dwordx4 v[36:39], v36, s[8:9] offset:656
	global_load_dwordx4 v[72:75], v42, s[8:9] offset:656
	;; [unrolled: 1-line block ×3, first 2 shown]
	v_lshrrev_b16 v93, 1, v254
	v_mul_u32_u24_sdwa v43, v93, v243 dst_sel:DWORD dst_unused:UNUSED_PAD src0_sel:WORD_0 src1_sel:DWORD
	v_mul_u32_u24_sdwa v117, v93, v94 dst_sel:DWORD dst_unused:UNUSED_PAD src0_sel:WORD_0 src1_sel:DWORD
	v_lshrrev_b32_e32 v93, 22, v87
	v_mov_b32_e32 v94, v244
	v_lshrrev_b32_e32 v109, 17, v43
	s_clause 0x3
	global_load_dwordx4 v[64:67], v40, s[8:9] offset:656
	global_load_dwordx4 v[40:43], v48, s[8:9] offset:640
	;; [unrolled: 1-line block ×4, first 2 shown]
	v_lshrrev_b32_e32 v87, 22, v117
	v_mul_u32_u24_e32 v117, 0x960, v91
	v_mul_lo_u16 v49, v109, 50
	v_mul_lo_u16 v119, 0x96, v93
	v_mul_u32_u24_e32 v109, 0x960, v109
	v_mul_lo_u16 v122, 0x96, v87
	v_sub_nc_u16 v87, v127, v120
	v_sub_nc_u16 v106, v254, v49
	v_add3_u32 v234, 0, v117, v103
	v_lshlrev_b32_sdwa v123, v200, v87 dst_sel:DWORD dst_unused:UNUSED_PAD src0_sel:DWORD src1_sel:WORD_0
	v_lshlrev_b32_sdwa v76, v200, v106 dst_sel:DWORD dst_unused:UNUSED_PAD src0_sel:DWORD src1_sel:WORD_0
	s_clause 0x2
	global_load_dwordx4 v[48:51], v50, s[8:9] offset:656
	global_load_dwordx4 v[68:71], v76, s[8:9] offset:640
	;; [unrolled: 1-line block ×3, first 2 shown]
	buffer_store_dword v96, off, s[24:27], 0 offset:76 ; 4-byte Folded Spill
	v_lshlrev_b32_e32 v96, 1, v96
	buffer_store_dword v90, off, s[24:27], 0 offset:72 ; 4-byte Folded Spill
	v_lshlrev_b32_sdwa v106, v193, v106 dst_sel:DWORD dst_unused:UNUSED_PAD src0_sel:DWORD src1_sel:WORD_0
	buffer_store_dword v93, off, s[24:27], 0 offset:88 ; 4-byte Folded Spill
	buffer_store_dword v92, off, s[24:27], 0 offset:80 ; 4-byte Folded Spill
	v_lshlrev_b64 v[110:111], 4, v[96:97]
	v_lshrrev_b32_e32 v96, 22, v113
	v_lshrrev_b32_e32 v97, 22, v114
	v_mul_u32_u24_e32 v114, 0x960, v84
	v_mul_lo_u16 v84, 0x96, v98
	v_mul_u32_u24_e32 v113, 0x960, v89
	v_add_co_u32 v110, s0, s8, v110
	v_add_co_ci_u32_e64 v111, s0, s9, v111, s0
	v_add_co_u32 v171, s0, 0x800, v82
	v_add_co_ci_u32_e64 v172, s0, 0, v83, s0
	v_mul_lo_u16 v85, 0x96, v96
	v_add_co_u32 v173, s0, 0x8c0, v82
	v_mul_lo_u16 v86, 0x96, v97
	v_add_co_ci_u32_e64 v174, s0, 0, v83, s0
	v_sub_nc_u16 v90, v207, v84
	v_add_co_u32 v175, s0, 0x800, v110
	v_mul_lo_u16 v89, 0x96, v81
	v_sub_nc_u16 v91, v244, v85
	v_add_co_ci_u32_e64 v176, s0, 0, v111, s0
	v_add_co_u32 v177, s0, 0x8c0, v110
	v_sub_nc_u16 v84, v124, v86
	v_add_co_ci_u32_e64 v178, s0, 0, v111, s0
	v_lshlrev_b32_sdwa v111, v200, v90 dst_sel:DWORD dst_unused:UNUSED_PAD src0_sel:DWORD src1_sel:WORD_0
	v_sub_nc_u16 v85, v125, v89
	v_lshlrev_b32_sdwa v110, v193, v88 dst_sel:DWORD dst_unused:UNUSED_PAD src0_sel:DWORD src1_sel:WORD_0
	v_lshlrev_b32_sdwa v118, v200, v91 dst_sel:DWORD dst_unused:UNUSED_PAD src0_sel:DWORD src1_sel:WORD_0
	v_sub_nc_u16 v86, v95, v119
	v_lshlrev_b32_sdwa v120, v200, v84 dst_sel:DWORD dst_unused:UNUSED_PAD src0_sel:DWORD src1_sel:WORD_0
	v_add3_u32 v237, 0, v109, v106
	ds_read_b128 v[103:106], v255 offset:43200
	v_add_co_u32 v111, s0, s8, v111
	v_sub_nc_u16 v89, v126, v121
	v_lshlrev_b32_sdwa v121, v200, v85 dst_sel:DWORD dst_unused:UNUSED_PAD src0_sel:DWORD src1_sel:WORD_0
	v_add3_u32 v219, 0, v112, v110
	v_add_co_ci_u32_e64 v112, null, s9, 0, s0
	v_add_co_u32 v239, s0, s8, v118
	v_sub_nc_u16 v119, v254, v122
	v_lshlrev_b32_sdwa v122, v200, v86 dst_sel:DWORD dst_unused:UNUSED_PAD src0_sel:DWORD src1_sel:WORD_0
	v_add_co_ci_u32_e64 v240, null, s9, 0, s0
	v_add_co_u32 v241, s0, s8, v120
	v_add_co_ci_u32_e64 v242, null, s9, 0, s0
	v_add_co_u32 v243, s0, s8, v121
	v_lshlrev_b32_sdwa v124, v200, v89 dst_sel:DWORD dst_unused:UNUSED_PAD src0_sel:DWORD src1_sel:WORD_0
	v_add_co_ci_u32_e64 v244, null, s9, 0, s0
	v_add_co_u32 v245, s0, s8, v122
	v_add_co_ci_u32_e64 v246, null, s9, 0, s0
	v_add_co_u32 v247, s0, s8, v123
	v_add_co_ci_u32_e64 v248, null, s9, 0, s0
	v_add_co_u32 v249, s0, s8, v124
	v_add_co_ci_u32_e64 v250, null, s9, 0, s0
	v_add_co_u32 v179, s0, 0x800, v111
	v_add_co_ci_u32_e64 v180, s0, 0, v112, s0
	v_add_co_u32 v181, s0, 0x8c0, v111
	v_add3_u32 v230, 0, v113, v99
	v_add3_u32 v231, 0, v114, v100
	v_add_co_ci_u32_e64 v182, s0, 0, v112, s0
	ds_read_b128 v[111:114], v255 offset:45360
	s_waitcnt lgkmcnt(1)
	v_mul_f64 v[187:188], v[105:106], v[6:7]
	v_mov_b32_e32 v92, v95
	v_mov_b32_e32 v93, v127
	;; [unrolled: 1-line block ×3, first 2 shown]
	v_and_b32_e32 v88, 0xffff, v119
	ds_read_b128 v[99:102], v255 offset:21600
	ds_read_b128 v[107:110], v255 offset:23760
	ds_read_b128 v[115:118], v255 offset:25920
	ds_read_b128 v[119:122], v255 offset:28080
	ds_read_b128 v[123:126], v255 offset:47520
	ds_read_b128 v[127:130], v255 offset:49680
	v_mul_f64 v[6:7], v[103:104], v[6:7]
	ds_read_b128 v[131:134], v255 offset:30240
	ds_read_b128 v[135:138], v255 offset:32400
	ds_read_b128 v[139:142], v255 offset:51840
	ds_read_b128 v[143:146], v255 offset:54000
	ds_read_b128 v[147:150], v255 offset:34560
	ds_read_b128 v[151:154], v255 offset:36720
	ds_read_b128 v[155:158], v255 offset:56160
	ds_read_b128 v[159:162], v255 offset:58320
	ds_read_b128 v[163:166], v255 offset:38880
	ds_read_b128 v[167:170], v255 offset:41040
	v_add_co_u32 v183, s0, 0x800, v239
	v_add_co_ci_u32_e64 v184, s0, 0, v240, s0
	v_lshlrev_b32_e32 v238, 5, v88
	v_lshlrev_b32_sdwa v89, v193, v89 dst_sel:DWORD dst_unused:UNUSED_PAD src0_sel:DWORD src1_sel:WORD_0
	s_waitcnt lgkmcnt(16)
	v_mul_f64 v[191:192], v[113:114], v[14:15]
	v_mul_f64 v[14:15], v[111:112], v[14:15]
	v_lshlrev_b32_sdwa v87, v193, v87 dst_sel:DWORD dst_unused:UNUSED_PAD src0_sel:DWORD src1_sel:WORD_0
	v_fma_f64 v[103:104], v[103:104], v[4:5], v[187:188]
	v_lshlrev_b32_sdwa v84, v193, v84 dst_sel:DWORD dst_unused:UNUSED_PAD src0_sel:DWORD src1_sel:WORD_0
	v_mul_u32_u24_e32 v98, 0x1c20, v98
	s_waitcnt lgkmcnt(15)
	v_mul_f64 v[185:186], v[101:102], v[2:3]
	s_waitcnt lgkmcnt(14)
	v_mul_f64 v[189:190], v[109:110], v[10:11]
	;; [unrolled: 2-line block ×4, first 2 shown]
	v_mul_f64 v[30:31], v[127:128], v[30:31]
	v_mul_f64 v[2:3], v[99:100], v[2:3]
	;; [unrolled: 1-line block ×4, first 2 shown]
	v_fma_f64 v[105:106], v[105:106], v[4:5], -v[6:7]
	v_fma_f64 v[111:112], v[111:112], v[12:13], v[191:192]
	v_fma_f64 v[113:114], v[113:114], v[12:13], -v[14:15]
	v_fma_f64 v[185:186], v[99:100], v[0:1], v[185:186]
	v_fma_f64 v[107:108], v[107:108], v[8:9], v[189:190]
	s_waitcnt lgkmcnt(9)
	v_mul_f64 v[189:190], v[133:134], v[34:35]
	v_fma_f64 v[115:116], v[115:116], v[16:17], v[194:195]
	s_waitcnt vmcnt(10) lgkmcnt(8)
	v_mul_f64 v[194:195], v[137:138], v[46:47]
	v_mul_f64 v[46:47], v[135:136], v[46:47]
	v_fma_f64 v[127:128], v[127:128], v[28:29], v[187:188]
	v_fma_f64 v[129:130], v[129:130], v[28:29], -v[30:31]
	v_fma_f64 v[196:197], v[101:102], v[0:1], -v[2:3]
	ds_read_b128 v[0:3], v255 offset:60480
	ds_read_b128 v[4:7], v255 offset:62640
	v_mul_f64 v[99:100], v[125:126], v[22:23]
	v_mul_f64 v[22:23], v[123:124], v[22:23]
	;; [unrolled: 1-line block ×5, first 2 shown]
	v_fma_f64 v[109:110], v[109:110], v[8:9], -v[10:11]
	ds_read_b128 v[8:11], v255
	ds_read_b128 v[12:15], v255 offset:2160
	v_fma_f64 v[117:118], v[117:118], v[16:17], -v[18:19]
	v_fma_f64 v[131:132], v[131:132], v[32:33], v[189:190]
	v_fma_f64 v[135:136], v[135:136], v[44:45], v[194:195]
	v_fma_f64 v[46:47], v[137:138], v[44:45], -v[46:47]
	v_fma_f64 v[123:124], v[123:124], v[20:21], v[99:100]
	v_fma_f64 v[125:126], v[125:126], v[20:21], -v[22:23]
	ds_read_b128 v[16:19], v255 offset:4320
	ds_read_b128 v[20:23], v255 offset:6480
	v_fma_f64 v[119:120], v[119:120], v[24:25], v[101:102]
	v_fma_f64 v[121:122], v[121:122], v[24:25], -v[26:27]
	v_fma_f64 v[133:134], v[133:134], v[32:33], -v[34:35]
	ds_read_b128 v[24:27], v255 offset:8640
	ds_read_b128 v[99:102], v255 offset:10800
	s_waitcnt vmcnt(9) lgkmcnt(15)
	v_mul_f64 v[191:192], v[141:142], v[38:39]
	s_waitcnt vmcnt(8) lgkmcnt(14)
	v_mul_f64 v[28:29], v[145:146], v[74:75]
	v_mul_f64 v[30:31], v[143:144], v[74:75]
	;; [unrolled: 1-line block ×3, first 2 shown]
	s_waitcnt vmcnt(7) lgkmcnt(13)
	v_mul_f64 v[74:75], v[149:150], v[62:63]
	v_mul_f64 v[62:63], v[147:148], v[62:63]
	s_waitcnt vmcnt(6) lgkmcnt(11)
	v_mul_f64 v[187:188], v[157:158], v[66:67]
	v_mul_f64 v[66:67], v[155:156], v[66:67]
	s_waitcnt vmcnt(5)
	v_mul_f64 v[189:190], v[153:154], v[42:43]
	v_mul_f64 v[198:199], v[151:152], v[42:43]
	s_waitcnt vmcnt(3) lgkmcnt(9)
	v_mul_f64 v[201:202], v[165:166], v[54:55]
	v_mul_f64 v[54:55], v[163:164], v[54:55]
	v_fma_f64 v[139:140], v[139:140], v[36:37], v[191:192]
	v_mul_f64 v[191:192], v[161:162], v[58:59]
	v_mul_f64 v[58:59], v[159:160], v[58:59]
	v_fma_f64 v[143:144], v[143:144], v[72:73], v[28:29]
	v_fma_f64 v[72:73], v[145:146], v[72:73], -v[30:31]
	v_fma_f64 v[141:142], v[141:142], v[36:37], -v[38:39]
	v_fma_f64 v[74:75], v[147:148], v[60:61], v[74:75]
	v_fma_f64 v[60:61], v[149:150], v[60:61], -v[62:63]
	ds_read_b128 v[28:31], v255 offset:12960
	ds_read_b128 v[32:35], v255 offset:15120
	s_waitcnt vmcnt(2) lgkmcnt(9)
	v_mul_f64 v[137:138], v[2:3], v[50:51]
	v_mul_f64 v[50:51], v[0:1], v[50:51]
	s_waitcnt vmcnt(1)
	v_mul_f64 v[194:195], v[169:170], v[70:71]
	v_mul_f64 v[70:71], v[167:168], v[70:71]
	s_waitcnt vmcnt(0) lgkmcnt(8)
	v_mul_f64 v[145:146], v[6:7], v[78:79]
	v_mul_f64 v[78:79], v[4:5], v[78:79]
	v_fma_f64 v[62:63], v[155:156], v[64:65], v[187:188]
	v_fma_f64 v[64:65], v[157:158], v[64:65], -v[66:67]
	v_fma_f64 v[66:67], v[151:152], v[40:41], v[189:190]
	v_fma_f64 v[40:41], v[153:154], v[40:41], -v[198:199]
	s_waitcnt lgkmcnt(6)
	v_add_f64 v[149:150], v[12:13], v[107:108]
	v_add_f64 v[153:154], v[115:116], v[123:124]
	;; [unrolled: 1-line block ×3, first 2 shown]
	ds_read_b128 v[36:39], v255 offset:17280
	ds_read_b128 v[42:45], v255 offset:19440
	v_fma_f64 v[147:148], v[159:160], v[56:57], v[191:192]
	v_fma_f64 v[56:57], v[161:162], v[56:57], -v[58:59]
	v_fma_f64 v[58:59], v[163:164], v[52:53], v[201:202]
	v_fma_f64 v[52:53], v[165:166], v[52:53], -v[54:55]
	s_waitcnt lgkmcnt(7)
	v_add_f64 v[159:160], v[16:17], v[115:116]
	v_add_f64 v[157:158], v[18:19], v[117:118]
	;; [unrolled: 1-line block ×4, first 2 shown]
	v_fma_f64 v[54:55], v[0:1], v[48:49], v[137:138]
	v_fma_f64 v[48:49], v[2:3], v[48:49], -v[50:51]
	v_fma_f64 v[50:51], v[167:168], v[68:69], v[194:195]
	v_fma_f64 v[68:69], v[169:170], v[68:69], -v[70:71]
	;; [unrolled: 2-line block ×3, first 2 shown]
	v_add_f64 v[0:1], v[185:186], v[103:104]
	v_add_f64 v[2:3], v[196:197], v[105:106]
	;; [unrolled: 1-line block ×11, first 2 shown]
	v_add_f64 v[165:166], v[185:186], -v[103:104]
	s_waitcnt lgkmcnt(6)
	v_add_f64 v[185:186], v[22:23], v[121:122]
	v_add_f64 v[187:188], v[20:21], v[119:120]
	v_add_f64 v[203:204], v[74:75], v[62:63]
	v_add_f64 v[205:206], v[60:61], v[64:65]
	v_add_f64 v[151:152], v[196:197], -v[105:106]
	s_waitcnt lgkmcnt(5)
	v_add_f64 v[194:195], v[26:27], v[133:134]
	v_add_f64 v[196:197], v[24:25], v[131:132]
	v_add_f64 v[109:110], v[109:110], -v[113:114]
	s_waitcnt lgkmcnt(4)
	v_add_f64 v[198:199], v[101:102], v[46:47]
	v_add_f64 v[201:202], v[99:100], v[135:136]
	v_fma_f64 v[208:209], v[0:1], -0.5, v[8:9]
	v_fma_f64 v[210:211], v[2:3], -0.5, v[10:11]
	v_add_f64 v[2:3], v[4:5], v[105:106]
	v_add_f64 v[0:1], v[6:7], v[103:104]
	;; [unrolled: 1-line block ×4, first 2 shown]
	s_waitcnt lgkmcnt(3)
	v_add_f64 v[212:213], v[30:31], v[60:61]
	v_add_f64 v[216:217], v[46:47], -v[72:73]
	s_waitcnt lgkmcnt(2)
	v_add_f64 v[46:47], v[34:35], v[40:41]
	v_add_f64 v[220:221], v[32:33], v[66:67]
	v_add_f64 v[222:223], v[60:61], -v[64:65]
	v_add_f64 v[226:227], v[40:41], -v[56:57]
	v_add_f64 v[6:7], v[145:146], v[113:114]
	v_add_f64 v[40:41], v[58:59], v[54:55]
	;; [unrolled: 1-line block ×5, first 2 shown]
	v_add_f64 v[107:108], v[107:108], -v[111:112]
	v_fma_f64 v[78:79], v[78:79], -0.5, v[12:13]
	v_fma_f64 v[137:138], v[137:138], -0.5, v[14:15]
	v_add_f64 v[4:5], v[149:150], v[111:112]
	v_add_f64 v[149:150], v[66:67], -v[147:148]
	s_waitcnt lgkmcnt(1)
	v_add_f64 v[66:67], v[38:39], v[52:53]
	v_add_f64 v[117:118], v[117:118], -v[125:126]
	v_add_f64 v[115:116], v[115:116], -v[123:124]
	v_add_f64 v[214:215], v[28:29], v[74:75]
	v_add_f64 v[224:225], v[74:75], -v[62:63]
	v_fma_f64 v[74:75], v[153:154], -0.5, v[16:17]
	v_fma_f64 v[111:112], v[155:156], -0.5, v[18:19]
	v_add_f64 v[8:9], v[159:160], v[123:124]
	v_add_f64 v[123:124], v[36:37], v[58:59]
	v_add_f64 v[121:122], v[121:122], -v[129:130]
	v_add_f64 v[119:120], v[119:120], -v[127:128]
	v_add_f64 v[10:11], v[157:158], v[125:126]
	v_fma_f64 v[125:126], v[161:162], -0.5, v[20:21]
	v_fma_f64 v[153:154], v[163:164], -0.5, v[22:23]
	v_add_f64 v[133:134], v[133:134], -v[141:142]
	v_add_f64 v[131:132], v[131:132], -v[139:140]
	s_waitcnt lgkmcnt(0)
	v_add_f64 v[157:158], v[42:43], v[50:51]
	v_fma_f64 v[167:168], v[167:168], -0.5, v[24:25]
	v_fma_f64 v[169:170], v[169:170], -0.5, v[26:27]
	v_add_f64 v[135:136], v[135:136], -v[143:144]
	v_add_f64 v[155:156], v[44:45], v[68:69]
	v_fma_f64 v[99:100], v[189:190], -0.5, v[99:100]
	v_fma_f64 v[101:102], v[191:192], -0.5, v[101:102]
	v_add_f64 v[14:15], v[185:186], v[129:130]
	v_add_f64 v[12:13], v[187:188], v[127:128]
	v_fma_f64 v[127:128], v[203:204], -0.5, v[28:29]
	v_fma_f64 v[129:130], v[205:206], -0.5, v[30:31]
	v_add_f64 v[18:19], v[194:195], v[141:142]
	v_add_f64 v[16:17], v[196:197], v[139:140]
	v_fma_f64 v[139:140], v[103:104], -0.5, v[32:33]
	v_fma_f64 v[141:142], v[105:106], -0.5, v[34:35]
	v_add_f64 v[159:160], v[52:53], -v[48:49]
	v_add_f64 v[161:162], v[58:59], -v[54:55]
	;; [unrolled: 1-line block ×4, first 2 shown]
	v_add_f64 v[20:21], v[201:202], v[143:144]
	v_add_f64 v[28:29], v[220:221], v[147:148]
	v_fma_f64 v[143:144], v[40:41], -0.5, v[36:37]
	v_fma_f64 v[147:148], v[60:61], -0.5, v[38:39]
	;; [unrolled: 1-line block ×4, first 2 shown]
	v_fma_f64 v[40:41], v[151:152], s[4:5], v[208:209]
	v_fma_f64 v[42:43], v[165:166], s[6:7], v[210:211]
	v_add_f64 v[30:31], v[46:47], v[56:57]
	v_fma_f64 v[44:45], v[151:152], s[6:7], v[208:209]
	v_fma_f64 v[46:47], v[165:166], s[4:5], v[210:211]
	s_waitcnt_vscnt null, 0x0
	s_barrier
	buffer_gl0_inv
	ds_write_b128 v218, v[0:3]
	v_fma_f64 v[0:1], v[109:110], s[4:5], v[78:79]
	v_fma_f64 v[2:3], v[107:108], s[6:7], v[137:138]
	v_add_f64 v[34:35], v[66:67], v[48:49]
	v_fma_f64 v[48:49], v[109:110], s[6:7], v[78:79]
	v_fma_f64 v[50:51], v[107:108], s[4:5], v[137:138]
	v_add_f64 v[32:33], v[123:124], v[54:55]
	v_fma_f64 v[52:53], v[117:118], s[4:5], v[74:75]
	v_fma_f64 v[54:55], v[115:116], s[6:7], v[111:112]
	v_fma_f64 v[56:57], v[117:118], s[6:7], v[74:75]
	v_fma_f64 v[58:59], v[115:116], s[4:5], v[111:112]
	v_add_f64 v[24:25], v[214:215], v[62:63]
	v_fma_f64 v[60:61], v[121:122], s[4:5], v[125:126]
	v_fma_f64 v[62:63], v[119:120], s[6:7], v[153:154]
	v_add_f64 v[26:27], v[212:213], v[64:65]
	v_fma_f64 v[64:65], v[121:122], s[6:7], v[125:126]
	v_fma_f64 v[66:67], v[119:120], s[4:5], v[153:154]
	;; [unrolled: 3-line block ×5, first 2 shown]
	v_fma_f64 v[99:100], v[216:217], s[6:7], v[99:100]
	v_fma_f64 v[101:102], v[135:136], s[4:5], v[101:102]
	;; [unrolled: 1-line block ×18, first 2 shown]
	ds_write_b128 v218, v[40:43] offset:800
	ds_write_b128 v218, v[44:47] offset:1600
	ds_write_b128 v219, v[4:7]
	ds_write_b128 v219, v[0:3] offset:800
	ds_write_b128 v219, v[48:51] offset:1600
	ds_write_b128 v230, v[8:11]
	;; [unrolled: 3-line block ×9, first 2 shown]
	ds_write_b128 v237, v[127:130] offset:800
	ds_write_b128 v237, v[131:134] offset:1600
	v_add_co_u32 v0, s0, 0x8c0, v239
	v_add_co_ci_u32_e64 v1, s0, 0, v240, s0
	v_add_co_u32 v2, s0, 0x800, v241
	v_add_co_ci_u32_e64 v3, s0, 0, v242, s0
	;; [unrolled: 2-line block ×6, first 2 shown]
	s_waitcnt lgkmcnt(0)
	s_barrier
	buffer_gl0_inv
	s_clause 0x7
	global_load_dwordx4 v[76:79], v[171:172], off offset:192
	global_load_dwordx4 v[72:75], v[173:174], off offset:16
	;; [unrolled: 1-line block ×8, first 2 shown]
	v_add_co_u32 v0, s0, 0x8c0, v245
	v_add_co_ci_u32_e64 v1, s0, 0, v246, s0
	v_add_co_u32 v20, s0, 0x800, v247
	v_add_co_ci_u32_e64 v21, s0, 0, v248, s0
	;; [unrolled: 2-line block ×5, first 2 shown]
	v_add_co_u32 v48, s0, s8, v238
	v_add_co_ci_u32_e64 v49, null, s9, 0, s0
	s_clause 0x1
	global_load_dwordx4 v[40:43], v[2:3], off offset:192
	global_load_dwordx4 v[44:47], v[4:5], off offset:16
	v_add_co_u32 v38, s0, 0x800, v48
	v_add_co_ci_u32_e64 v39, s0, 0, v49, s0
	v_add_co_u32 v48, s0, 0x8c0, v48
	v_add_co_ci_u32_e64 v49, s0, 0, v49, s0
	s_clause 0x9
	global_load_dwordx4 v[32:35], v[6:7], off offset:192
	global_load_dwordx4 v[16:19], v[8:9], off offset:16
	;; [unrolled: 1-line block ×10, first 2 shown]
	v_mul_u32_u24_e32 v107, 0x1c20, v81
	buffer_load_dword v81, off, s[24:27], 0 offset:88 ; 4-byte Folded Reload
	v_mov_b32_e32 v248, v92
	buffer_load_dword v92, off, s[24:27], 0 offset:76 ; 4-byte Folded Reload
	v_mov_b32_e32 v100, 0x91a3
	v_cmp_lt_u32_e64 s0, 14, v253
	v_mov_b32_e32 v247, v93
	v_mov_b32_e32 v246, v95
	v_subrev_nc_u32_e32 v99, 45, v253
	v_mul_u32_u24_sdwa v102, v248, v100 dst_sel:DWORD dst_unused:UNUSED_PAD src0_sel:WORD_0 src1_sel:DWORD
	v_cndmask_b32_e64 v101, 0, 0x1c20, s0
	v_mul_u32_u24_sdwa v103, v247, v100 dst_sel:DWORD dst_unused:UNUSED_PAD src0_sel:WORD_0 src1_sel:DWORD
	v_mul_u32_u24_sdwa v104, v246, v100 dst_sel:DWORD dst_unused:UNUSED_PAD src0_sel:WORD_0 src1_sel:DWORD
	;; [unrolled: 1-line block ×3, first 2 shown]
	v_lshrrev_b32_e32 v100, 24, v102
	v_cmp_gt_u32_e64 s0, 45, v253
	v_lshrrev_b32_e32 v102, 24, v103
	v_lshrrev_b32_e32 v103, 24, v104
	v_mov_b32_e32 v249, v94
	v_lshrrev_b32_e32 v104, 24, v105
	v_mul_u32_u24_e32 v105, 0x1c20, v96
	v_mul_lo_u16 v102, 0x1c2, v102
	v_mul_lo_u16 v103, 0x1c2, v103
	v_cndmask_b32_e64 v99, v99, v249, s0
	v_add_co_u32 v96, s0, 0x1800, v82
	v_mul_lo_u16 v104, 0x1c2, v104
	v_sub_nc_u16 v93, v247, v102
	v_mul_u32_u24_e32 v106, 0x1c20, v97
	v_add_co_ci_u32_e64 v97, s0, 0, v83, s0
	v_add_co_u32 v178, s0, 0x1b80, v82
	v_sub_nc_u16 v94, v246, v103
	v_add_co_ci_u32_e64 v179, s0, 0, v83, s0
	v_and_b32_e32 v93, 0xffff, v93
	v_lshl_add_u32 v238, v88, 4, 0
	v_and_b32_e32 v94, 0xffff, v94
	v_lshlrev_b32_sdwa v103, v193, v90 dst_sel:DWORD dst_unused:UNUSED_PAD src0_sel:DWORD src1_sel:WORD_0
	v_lshlrev_b32_sdwa v110, v193, v85 dst_sel:DWORD dst_unused:UNUSED_PAD src0_sel:DWORD src1_sel:WORD_0
	v_lshlrev_b32_e32 v112, 5, v93
	v_lshlrev_b32_sdwa v111, v193, v86 dst_sel:DWORD dst_unused:UNUSED_PAD src0_sel:DWORD src1_sel:WORD_0
	v_lshlrev_b32_e32 v113, 5, v94
	v_add3_u32 v84, 0, v106, v84
	v_add3_u32 v218, 0, v107, v110
	v_add3_u32 v98, 0, v98, v103
	s_waitcnt vmcnt(1)
	v_mul_u32_u24_e32 v108, 0x1c20, v81
	buffer_load_dword v81, off, s[24:27], 0 offset:80 ; 4-byte Folded Reload
	v_add3_u32 v219, 0, v108, v111
	s_waitcnt vmcnt(0)
	v_mul_u32_u24_e32 v109, 0x1c20, v81
	buffer_load_dword v81, off, s[24:27], 0 offset:72 ; 4-byte Folded Reload
	v_lshlrev_b32_e32 v95, 4, v92
	v_add3_u32 v236, 0, v109, v87
	ds_read_b128 v[106:109], v255 offset:43200
	v_add3_u32 v101, 0, v101, v95
	v_mul_lo_u16 v95, 0x1c2, v100
	v_sub_nc_u16 v92, v248, v95
	v_sub_nc_u16 v95, v254, v104
	v_lshlrev_b32_sdwa v104, v193, v91 dst_sel:DWORD dst_unused:UNUSED_PAD src0_sel:DWORD src1_sel:WORD_0
	v_lshlrev_b64 v[90:91], 4, v[251:252]
	v_lshlrev_b32_e32 v251, 1, v207
	v_lshlrev_b32_sdwa v102, v200, v92 dst_sel:DWORD dst_unused:UNUSED_PAD src0_sel:DWORD src1_sel:WORD_0
	v_and_b32_e32 v95, 0xffff, v95
	v_add3_u32 v192, 0, v105, v104
	v_lshlrev_b64 v[85:86], 4, v[251:252]
	v_add_co_u32 v102, s0, s8, v102
	v_add_co_ci_u32_e64 v115, null, s9, 0, s0
	v_lshlrev_b32_e32 v114, 5, v95
	v_add_co_u32 v88, s0, 0x1800, v102
	v_lshlrev_b32_e32 v251, 1, v99
	s_waitcnt vmcnt(0)
	v_mul_u32_u24_e32 v81, 0x1c20, v81
	v_add3_u32 v237, 0, v81, v89
	v_add_co_ci_u32_e64 v89, s0, 0, v115, s0
	v_add_co_u32 v180, s0, 0x1b80, v102
	v_add_co_ci_u32_e64 v181, s0, 0, v115, s0
	v_add_co_u32 v239, s0, s8, v112
	v_add_co_ci_u32_e64 v240, null, s9, 0, s0
	v_add_co_u32 v241, s0, s8, v113
	v_add_co_ci_u32_e64 v242, null, s9, 0, s0
	;; [unrolled: 2-line block ×3, first 2 shown]
	v_add_co_u32 v87, s0, s8, v90
	v_add_co_ci_u32_e64 v91, s0, s9, v91, s0
	v_add_co_u32 v182, s0, 0x1800, v239
	v_add_co_ci_u32_e64 v183, s0, 0, v240, s0
	;; [unrolled: 2-line block ×5, first 2 shown]
	v_lshlrev_b64 v[114:115], 4, v[251:252]
	v_add_co_u32 v190, s0, 0x1800, v85
	v_add_co_ci_u32_e64 v191, s0, 0, v86, s0
	v_add_co_u32 v194, s0, 0x1b80, v85
	ds_read_b128 v[102:105], v255 offset:21600
	ds_read_b128 v[110:113], v255 offset:23760
	v_add_co_ci_u32_e64 v195, s0, 0, v86, s0
	v_add_co_u32 v90, s0, s8, v114
	v_add_co_ci_u32_e64 v245, s0, s9, v115, s0
	ds_read_b128 v[114:117], v255 offset:45360
	ds_read_b128 v[118:121], v255 offset:25920
	;; [unrolled: 1-line block ×5, first 2 shown]
	s_waitcnt lgkmcnt(7)
	v_mul_f64 v[202:203], v[108:109], v[74:75]
	v_add_nc_u32_e32 v251, 0xb4, v80
	v_mul_f64 v[74:75], v[106:107], v[74:75]
	v_lshlrev_b64 v[188:189], 4, v[251:252]
	v_add_nc_u32_e32 v251, 0x1c2, v80
	s_waitcnt lgkmcnt(6)
	v_mul_f64 v[198:199], v[104:105], v[78:79]
	s_waitcnt lgkmcnt(5)
	v_mul_f64 v[204:205], v[112:113], v[70:71]
	v_mul_f64 v[206:207], v[110:111], v[70:71]
	;; [unrolled: 1-line block ×3, first 2 shown]
	ds_read_b128 v[78:81], v255 offset:30240
	ds_read_b128 v[134:137], v255 offset:32400
	;; [unrolled: 1-line block ×8, first 2 shown]
	s_waitcnt lgkmcnt(11)
	v_mul_f64 v[210:211], v[120:121], v[62:63]
	v_mul_f64 v[208:209], v[116:117], v[66:67]
	s_waitcnt lgkmcnt(9)
	v_mul_f64 v[214:215], v[128:129], v[58:59]
	v_mul_f64 v[216:217], v[126:127], v[58:59]
	;; [unrolled: 1-line block ×3, first 2 shown]
	v_fma_f64 v[106:107], v[106:107], v[72:73], v[202:203]
	v_mul_f64 v[202:203], v[124:125], v[54:55]
	v_mul_f64 v[54:55], v[122:123], v[54:55]
	;; [unrolled: 1-line block ×3, first 2 shown]
	ds_read_b128 v[162:165], v255 offset:38880
	ds_read_b128 v[166:169], v255 offset:41040
	;; [unrolled: 1-line block ×4, first 2 shown]
	v_fma_f64 v[108:109], v[108:109], v[72:73], -v[74:75]
	v_lshlrev_b64 v[196:197], 4, v[251:252]
	v_lshlrev_b32_e32 v251, 1, v249
	v_fma_f64 v[198:199], v[102:103], v[76:77], v[198:199]
	v_fma_f64 v[110:111], v[110:111], v[68:69], v[204:205]
	s_waitcnt lgkmcnt(12)
	v_mul_f64 v[204:205], v[132:133], v[30:31]
	v_fma_f64 v[112:113], v[112:113], v[68:69], -v[206:207]
	s_waitcnt lgkmcnt(11)
	v_mul_f64 v[206:207], v[80:81], v[42:43]
	v_mul_f64 v[42:43], v[78:79], v[42:43]
	;; [unrolled: 1-line block ×3, first 2 shown]
	v_fma_f64 v[118:119], v[118:119], v[60:61], v[210:211]
	v_fma_f64 v[114:115], v[114:115], v[64:65], v[208:209]
	;; [unrolled: 1-line block ×3, first 2 shown]
	v_fma_f64 v[56:57], v[128:129], v[56:57], -v[216:217]
	s_waitcnt lgkmcnt(9)
	v_mul_f64 v[128:129], v[140:141], v[46:47]
	v_mul_f64 v[46:47], v[138:139], v[46:47]
	v_mul_f64 v[208:209], v[136:137], v[34:35]
	v_mul_f64 v[34:35], v[134:135], v[34:35]
	v_fma_f64 v[122:123], v[122:123], v[52:53], v[202:203]
	v_fma_f64 v[52:53], v[124:125], v[52:53], -v[54:55]
	s_waitcnt lgkmcnt(8)
	v_mul_f64 v[54:55], v[144:145], v[18:19]
	v_mul_f64 v[18:19], v[142:143], v[18:19]
	s_waitcnt lgkmcnt(7)
	v_mul_f64 v[124:125], v[148:149], v[14:15]
	v_mul_f64 v[202:203], v[146:147], v[14:15]
	v_fma_f64 v[120:121], v[120:121], v[60:61], -v[212:213]
	s_waitcnt lgkmcnt(6)
	v_mul_f64 v[210:211], v[152:153], v[10:11]
	v_mul_f64 v[212:213], v[150:151], v[10:11]
	v_fma_f64 v[130:131], v[130:131], v[28:29], v[204:205]
	s_waitcnt lgkmcnt(5)
	v_mul_f64 v[204:205], v[156:157], v[2:3]
	v_mul_f64 v[2:3], v[154:155], v[2:3]
	v_fma_f64 v[78:79], v[78:79], v[40:41], v[206:207]
	v_fma_f64 v[40:41], v[80:81], v[40:41], -v[42:43]
	s_waitcnt lgkmcnt(4)
	v_mul_f64 v[42:43], v[160:161], v[6:7]
	v_mul_f64 v[6:7], v[158:159], v[6:7]
	v_fma_f64 v[200:201], v[104:105], v[76:77], -v[200:201]
	s_waitcnt lgkmcnt(3)
	v_mul_f64 v[80:81], v[164:165], v[26:27]
	v_mul_f64 v[206:207], v[162:163], v[26:27]
	v_fma_f64 v[128:129], v[138:139], v[44:45], v[128:129]
	v_fma_f64 v[44:45], v[140:141], v[44:45], -v[46:47]
	s_waitcnt lgkmcnt(1)
	v_mul_f64 v[46:47], v[172:173], v[22:23]
	v_mul_f64 v[22:23], v[170:171], v[22:23]
	;; [unrolled: 1-line block ×4, first 2 shown]
	v_fma_f64 v[34:35], v[136:137], v[32:33], -v[34:35]
	s_waitcnt lgkmcnt(0)
	v_mul_f64 v[136:137], v[176:177], v[50:51]
	v_mul_f64 v[50:51], v[174:175], v[50:51]
	ds_read_b128 v[70:73], v255
	ds_read_b128 v[74:77], v255 offset:2160
	v_fma_f64 v[116:117], v[116:117], v[64:65], -v[66:67]
	v_fma_f64 v[132:133], v[132:133], v[28:29], -v[30:31]
	v_fma_f64 v[134:135], v[134:135], v[32:33], v[208:209]
	v_fma_f64 v[54:55], v[142:143], v[16:17], v[54:55]
	v_fma_f64 v[140:141], v[144:145], v[16:17], -v[18:19]
	v_fma_f64 v[18:19], v[146:147], v[12:13], v[124:125]
	v_fma_f64 v[124:125], v[148:149], v[12:13], -v[202:203]
	;; [unrolled: 2-line block ×3, first 2 shown]
	ds_read_b128 v[62:65], v255 offset:4320
	ds_read_b128 v[66:69], v255 offset:6480
	;; [unrolled: 1-line block ×4, first 2 shown]
	v_fma_f64 v[146:147], v[150:151], v[8:9], v[210:211]
	v_fma_f64 v[8:9], v[152:153], v[8:9], -v[212:213]
	v_fma_f64 v[42:43], v[158:159], v[4:5], v[42:43]
	v_fma_f64 v[148:149], v[160:161], v[4:5], -v[6:7]
	;; [unrolled: 2-line block ×6, first 2 shown]
	v_add_f64 v[0:1], v[198:199], v[106:107]
	v_add_f64 v[2:3], v[200:201], v[108:109]
	s_waitcnt lgkmcnt(5)
	v_add_f64 v[6:7], v[72:73], v[200:201]
	v_add_f64 v[24:25], v[70:71], v[198:199]
	s_waitcnt lgkmcnt(4)
	v_add_f64 v[50:51], v[76:77], v[112:113]
	v_add_f64 v[138:139], v[74:75], v[110:111]
	ds_read_b128 v[14:17], v255 offset:12960
	ds_read_b128 v[26:29], v255 offset:15120
	;; [unrolled: 1-line block ×4, first 2 shown]
	v_add_f64 v[36:37], v[110:111], v[114:115]
	v_add_f64 v[38:39], v[112:113], v[116:117]
	;; [unrolled: 1-line block ×10, first 2 shown]
	s_waitcnt lgkmcnt(7)
	v_add_f64 v[170:171], v[62:63], v[118:119]
	s_waitcnt lgkmcnt(5)
	v_add_f64 v[202:203], v[58:59], v[78:79]
	v_add_f64 v[206:207], v[18:19], v[142:143]
	;; [unrolled: 1-line block ×3, first 2 shown]
	v_add_f64 v[154:155], v[198:199], -v[106:107]
	v_add_f64 v[176:177], v[68:69], v[52:53]
	v_add_f64 v[198:199], v[66:67], v[122:123]
	v_add_f64 v[212:213], v[52:53], -v[132:133]
	v_add_f64 v[52:53], v[146:147], v[42:43]
	v_add_f64 v[214:215], v[8:9], v[148:149]
	v_add_f64 v[152:153], v[200:201], -v[108:109]
	v_add_f64 v[110:111], v[110:111], -v[114:115]
	v_add_f64 v[200:201], v[60:61], v[40:41]
	s_waitcnt lgkmcnt(4)
	v_add_f64 v[204:205], v[104:105], v[34:35]
	v_add_f64 v[216:217], v[40:41], -v[44:45]
	s_waitcnt lgkmcnt(3)
	v_add_f64 v[40:41], v[16:17], v[124:125]
	v_add_f64 v[220:221], v[14:15], v[18:19]
	v_fma_f64 v[70:71], v[0:1], -0.5, v[70:71]
	v_fma_f64 v[72:73], v[2:3], -0.5, v[72:73]
	s_waitcnt lgkmcnt(2)
	v_add_f64 v[224:225], v[28:29], v[8:9]
	v_add_f64 v[226:227], v[26:27], v[146:147]
	;; [unrolled: 1-line block ×6, first 2 shown]
	v_add_f64 v[230:231], v[8:9], -v[148:149]
	s_waitcnt lgkmcnt(1)
	v_add_f64 v[8:9], v[12:13], v[4:5]
	v_add_f64 v[234:235], v[4:5], -v[150:151]
	v_add_f64 v[6:7], v[50:51], v[116:117]
	v_add_f64 v[4:5], v[138:139], v[114:115]
	;; [unrolled: 1-line block ×5, first 2 shown]
	v_add_f64 v[138:139], v[80:81], -v[46:47]
	s_waitcnt lgkmcnt(0)
	v_add_f64 v[80:81], v[32:33], v[22:23]
	v_add_f64 v[112:113], v[112:113], -v[116:117]
	v_fma_f64 v[74:75], v[36:37], -0.5, v[74:75]
	v_fma_f64 v[76:77], v[38:39], -0.5, v[76:77]
	v_add_f64 v[160:161], v[64:65], v[120:121]
	v_add_f64 v[210:211], v[102:103], v[134:135]
	v_add_f64 v[120:121], v[120:121], -v[56:57]
	v_add_f64 v[118:119], v[118:119], -v[126:127]
	v_fma_f64 v[62:63], v[156:157], -0.5, v[62:63]
	v_fma_f64 v[64:65], v[158:159], -0.5, v[64:65]
	v_add_f64 v[122:123], v[122:123], -v[130:131]
	v_fma_f64 v[66:67], v[162:163], -0.5, v[66:67]
	v_fma_f64 v[68:69], v[164:165], -0.5, v[68:69]
	v_add_f64 v[78:79], v[78:79], -v[128:129]
	v_fma_f64 v[162:163], v[166:167], -0.5, v[58:59]
	v_fma_f64 v[164:165], v[168:169], -0.5, v[60:61]
	v_add_f64 v[222:223], v[34:35], -v[140:141]
	v_add_f64 v[134:135], v[134:135], -v[54:55]
	v_fma_f64 v[102:103], v[172:173], -0.5, v[102:103]
	v_fma_f64 v[104:105], v[174:175], -0.5, v[104:105]
	v_add_f64 v[124:125], v[124:125], -v[144:145]
	v_add_f64 v[228:229], v[18:19], -v[142:143]
	v_add_f64 v[18:19], v[170:171], v[126:127]
	v_add_f64 v[34:35], v[202:203], v[128:129]
	v_fma_f64 v[126:127], v[206:207], -0.5, v[14:15]
	v_fma_f64 v[128:129], v[208:209], -0.5, v[16:17]
	v_add_f64 v[146:147], v[146:147], -v[42:43]
	v_add_f64 v[116:117], v[30:31], v[20:21]
	v_add_f64 v[156:157], v[22:23], -v[48:49]
	v_add_f64 v[24:25], v[176:177], v[132:133]
	v_add_f64 v[22:23], v[198:199], v[130:131]
	v_fma_f64 v[130:131], v[52:53], -0.5, v[26:27]
	v_fma_f64 v[132:133], v[214:215], -0.5, v[28:29]
	v_add_f64 v[158:159], v[20:21], -v[136:137]
	v_add_f64 v[36:37], v[200:201], v[44:45]
	v_add_f64 v[16:17], v[204:205], v[140:141]
	;; [unrolled: 1-line block ×5, first 2 shown]
	v_fma_f64 v[140:141], v[106:107], -0.5, v[10:11]
	v_fma_f64 v[12:13], v[108:109], -0.5, v[12:13]
	;; [unrolled: 1-line block ×4, first 2 shown]
	v_fma_f64 v[42:43], v[152:153], s[4:5], v[70:71]
	v_fma_f64 v[44:45], v[154:155], s[6:7], v[72:73]
	v_add_f64 v[10:11], v[8:9], v[150:151]
	v_add_f64 v[8:9], v[232:233], v[46:47]
	;; [unrolled: 1-line block ×3, first 2 shown]
	v_fma_f64 v[46:47], v[152:153], s[6:7], v[70:71]
	v_fma_f64 v[48:49], v[154:155], s[4:5], v[72:73]
	v_fma_f64 v[50:51], v[112:113], s[4:5], v[74:75]
	v_fma_f64 v[52:53], v[110:111], s[6:7], v[76:77]
	v_add_f64 v[20:21], v[160:161], v[56:57]
	v_add_f64 v[14:15], v[210:211], v[54:55]
	v_fma_f64 v[54:55], v[112:113], s[6:7], v[74:75]
	v_fma_f64 v[56:57], v[110:111], s[4:5], v[76:77]
	s_barrier
	buffer_gl0_inv
	ds_write_b128 v255, v[0:3]
	v_fma_f64 v[0:1], v[120:121], s[4:5], v[62:63]
	v_fma_f64 v[2:3], v[118:119], s[6:7], v[64:65]
	;; [unrolled: 1-line block ×20, first 2 shown]
	v_add_f64 v[40:41], v[224:225], v[148:149]
	v_add_f64 v[30:31], v[116:117], v[136:137]
	v_fma_f64 v[114:115], v[230:231], s[4:5], v[130:131]
	v_fma_f64 v[116:117], v[146:147], s[6:7], v[132:133]
	;; [unrolled: 1-line block ×12, first 2 shown]
	ds_write_b128 v255, v[42:45] offset:2400
	ds_write_b128 v255, v[46:49] offset:4800
	ds_write_b128 v101, v[4:7]
	ds_write_b128 v101, v[50:53] offset:2400
	ds_write_b128 v101, v[54:57] offset:4800
	ds_write_b128 v98, v[18:21]
	;; [unrolled: 3-line block ×8, first 2 shown]
	ds_write_b128 v237, v[122:125] offset:2400
	ds_write_b128 v237, v[126:129] offset:4800
	;; [unrolled: 1-line block ×5, first 2 shown]
	v_add_co_u32 v0, s0, 0x1800, v90
	v_add_co_ci_u32_e64 v1, s0, 0, v245, s0
	v_add_co_u32 v2, s0, 0x1b80, v90
	v_add_co_ci_u32_e64 v3, s0, 0, v245, s0
	v_add_co_u32 v6, s0, s8, v188
	v_add_co_ci_u32_e64 v7, s0, s9, v189, s0
	s_waitcnt lgkmcnt(0)
	v_add_co_u32 v4, s0, 0x1800, v6
	v_add_co_ci_u32_e64 v5, s0, 0, v7, s0
	v_add_co_u32 v10, s0, s8, v196
	v_add_co_ci_u32_e64 v11, s0, s9, v197, s0
	;; [unrolled: 2-line block ×4, first 2 shown]
	s_barrier
	buffer_gl0_inv
	s_clause 0x7
	global_load_dwordx4 v[76:79], v[96:97], off offset:896
	global_load_dwordx4 v[72:75], v[178:179], off offset:16
	;; [unrolled: 1-line block ×8, first 2 shown]
	v_add_co_u32 v0, s0, 0x1b80, v10
	v_add_co_ci_u32_e64 v1, s0, 0, v11, s0
	v_add_co_u32 v16, s0, 0x1b80, v239
	v_add_co_ci_u32_e64 v17, s0, 0, v240, s0
	;; [unrolled: 2-line block ×6, first 2 shown]
	v_cmp_lt_u32_e64 s0, 44, v253
	v_lshlrev_b32_e32 v81, 4, v99
	s_clause 0x5
	global_load_dwordx4 v[32:35], v[4:5], off offset:896
	global_load_dwordx4 v[20:23], v[6:7], off offset:16
	;; [unrolled: 1-line block ×6, first 2 shown]
	v_cndmask_b32_e64 v80, 0, 0x5460, s0
	s_clause 0x5
	global_load_dwordx4 v[24:27], v[182:183], off offset:896
	global_load_dwordx4 v[16:19], v[16:17], off offset:16
	;; [unrolled: 1-line block ×6, first 2 shown]
	v_lshlrev_b64 v[96:97], 4, v[251:252]
	v_add3_u32 v80, 0, v80, v81
	v_lshlrev_b32_sdwa v81, v193, v92 dst_sel:DWORD dst_unused:UNUSED_PAD src0_sel:DWORD src1_sel:WORD_0
	v_add_co_u32 v106, s0, 0x5000, v82
	v_add_co_ci_u32_e64 v107, s0, 0, v83, s0
	buffer_store_dword v80, off, s[24:27], 0 offset:72 ; 4-byte Folded Spill
	v_mul_u32_u24_e32 v80, 0x5460, v100
	v_add_co_u32 v104, s0, 0x53c0, v82
	v_add_co_ci_u32_e64 v105, s0, 0, v83, s0
	v_add3_u32 v80, 0, v80, v81
	v_add_co_u32 v88, s0, 0x5000, v87
	v_add_co_ci_u32_e64 v89, s0, 0, v91, s0
	buffer_store_dword v80, off, s[24:27], 0 offset:88 ; 4-byte Folded Spill
	v_lshl_add_u32 v80, v94, 4, 0
	v_add_co_u32 v90, s0, 0x53c0, v87
	v_add_co_ci_u32_e64 v91, s0, 0, v91, s0
	buffer_store_dword v80, off, s[24:27], 0 offset:80 ; 4-byte Folded Spill
	v_lshl_add_u32 v80, v95, 4, 0
	v_add_co_u32 v92, s0, 0x5000, v85
	v_lshl_add_u32 v84, v93, 4, 0
	v_add_co_ci_u32_e64 v93, s0, 0, v86, s0
	buffer_store_dword v80, off, s[24:27], 0 offset:76 ; 4-byte Folded Spill
	s_clause 0x1
	buffer_load_dword v80, off, s[24:27], 0 offset:16
	buffer_load_dword v81, off, s[24:27], 0 offset:20
	v_add_co_u32 v94, s0, 0x53c0, v85
	v_add_co_ci_u32_e64 v95, s0, 0, v86, s0
	v_mov_b32_e32 v82, v252
	v_mov_b32_e32 v87, v255
	s_waitcnt vmcnt(1)
	v_lshlrev_b32_e32 v251, 1, v80
	s_clause 0x1
	buffer_load_dword v80, off, s[24:27], 0 offset:8
	buffer_load_dword v81, off, s[24:27], 0 offset:12
	v_lshlrev_b64 v[85:86], 4, v[251:252]
	s_waitcnt vmcnt(1)
	v_lshlrev_b32_e32 v251, 1, v80
	v_add_co_u32 v80, s0, s8, v96
	s_waitcnt vmcnt(0)
	v_add_co_ci_u32_e64 v81, s0, s9, v97, s0
	v_lshlrev_b64 v[108:109], 4, v[251:252]
	v_add_co_u32 v96, s0, 0x5000, v80
	v_add_co_ci_u32_e64 v97, s0, 0, v81, s0
	v_add_co_u32 v98, s0, 0x53c0, v80
	v_add_co_ci_u32_e64 v99, s0, 0, v81, s0
	;; [unrolled: 2-line block ×3, first 2 shown]
	v_lshlrev_b32_e32 v251, 1, v248
	v_add_co_u32 v100, s0, 0x5000, v80
	v_add_co_ci_u32_e64 v101, s0, 0, v81, s0
	v_add_co_u32 v102, s0, 0x53c0, v80
	v_add_co_ci_u32_e64 v103, s0, 0, v81, s0
	;; [unrolled: 2-line block ×3, first 2 shown]
	v_lshlrev_b64 v[85:86], 4, v[251:252]
	v_add_co_u32 v192, s0, 0x5000, v80
	v_add_co_ci_u32_e64 v193, s0, 0, v81, s0
	v_add_co_u32 v194, s0, 0x53c0, v80
	v_add_co_ci_u32_e64 v195, s0, 0, v81, s0
	v_lshlrev_b32_e32 v251, 1, v247
	v_add_co_u32 v80, s0, s8, v85
	v_add_co_ci_u32_e64 v81, s0, s9, v86, s0
	v_lshlrev_b64 v[108:109], 4, v[251:252]
	v_add_co_u32 v220, s0, 0x5000, v80
	v_add_co_ci_u32_e64 v221, s0, 0, v81, s0
	v_add_co_u32 v222, s0, 0x53c0, v80
	v_add_co_ci_u32_e64 v223, s0, 0, v81, s0
	;; [unrolled: 2-line block ×3, first 2 shown]
	buffer_store_dword v81, off, s[24:27], 0 ; 4-byte Folded Spill
	buffer_store_dword v82, off, s[24:27], 0 offset:4 ; 4-byte Folded Spill
	ds_read_b128 v[108:111], v255 offset:21600
	ds_read_b128 v[112:115], v255 offset:43200
	;; [unrolled: 1-line block ×20, first 2 shown]
	ds_read_b128 v[188:191], v255
	ds_read_b128 v[198:201], v255 offset:2160
	ds_read_b128 v[202:205], v255 offset:4320
	;; [unrolled: 1-line block ×5, first 2 shown]
	v_lshlrev_b32_e32 v251, 1, v246
	v_add_co_u32 v226, s0, 0x5000, v80
	s_waitcnt lgkmcnt(23)
	v_mul_f64 v[234:235], v[118:119], v[70:71]
	s_waitcnt lgkmcnt(22)
	v_mul_f64 v[238:239], v[122:123], v[66:67]
	v_mul_f64 v[240:241], v[120:121], v[66:67]
	;; [unrolled: 1-line block ×3, first 2 shown]
	s_waitcnt lgkmcnt(21)
	v_mul_f64 v[242:243], v[126:127], v[62:63]
	v_mul_f64 v[62:63], v[124:125], v[62:63]
	s_waitcnt lgkmcnt(19)
	v_mul_f64 v[244:245], v[134:135], v[58:59]
	v_mul_f64 v[58:59], v[132:133], v[58:59]
	v_lshlrev_b64 v[196:197], 4, v[251:252]
	v_mul_f64 v[85:86], v[110:111], v[78:79]
	v_mul_f64 v[230:231], v[114:115], v[74:75]
	;; [unrolled: 1-line block ×4, first 2 shown]
	v_lshlrev_b32_e32 v251, 1, v254
	v_lshlrev_b64 v[224:225], 4, v[251:252]
	v_fma_f64 v[116:117], v[116:117], v[68:69], v[234:235]
	v_fma_f64 v[120:121], v[120:121], v[64:65], v[238:239]
	v_fma_f64 v[64:65], v[122:123], v[64:65], -v[240:241]
	s_waitcnt lgkmcnt(17)
	v_mul_f64 v[122:123], v[142:143], v[34:35]
	v_mul_f64 v[34:35], v[140:141], v[34:35]
	s_waitcnt lgkmcnt(15)
	v_mul_f64 v[234:235], v[150:151], v[22:23]
	v_mul_f64 v[22:23], v[148:149], v[22:23]
	v_fma_f64 v[124:125], v[124:125], v[60:61], v[242:243]
	v_fma_f64 v[60:61], v[126:127], v[60:61], -v[62:63]
	v_fma_f64 v[85:86], v[108:109], v[76:77], v[85:86]
	v_fma_f64 v[112:113], v[112:113], v[72:73], v[230:231]
	v_fma_f64 v[114:115], v[114:115], v[72:73], -v[232:233]
	v_mul_f64 v[230:231], v[130:131], v[54:55]
	v_mul_f64 v[54:55], v[128:129], v[54:55]
	;; [unrolled: 1-line block ×4, first 2 shown]
	v_fma_f64 v[78:79], v[110:111], v[76:77], -v[78:79]
	v_mul_f64 v[62:63], v[146:147], v[10:11]
	v_mul_f64 v[10:11], v[144:145], v[10:11]
	s_waitcnt lgkmcnt(14)
	v_mul_f64 v[126:127], v[154:155], v[2:3]
	v_fma_f64 v[132:133], v[132:133], v[56:57], v[244:245]
	v_fma_f64 v[56:57], v[134:135], v[56:57], -v[58:59]
	v_mul_f64 v[2:3], v[152:153], v[2:3]
	s_waitcnt lgkmcnt(13)
	v_mul_f64 v[58:59], v[158:159], v[14:15]
	v_mul_f64 v[14:15], v[156:157], v[14:15]
	s_waitcnt lgkmcnt(11)
	v_mul_f64 v[134:135], v[166:167], v[6:7]
	v_mul_f64 v[6:7], v[164:165], v[6:7]
	v_fma_f64 v[122:123], v[140:141], v[32:33], v[122:123]
	v_fma_f64 v[32:33], v[142:143], v[32:33], -v[34:35]
	s_waitcnt lgkmcnt(8)
	v_mul_f64 v[34:35], v[178:179], v[46:47]
	v_mul_f64 v[46:47], v[176:177], v[46:47]
	v_fma_f64 v[142:143], v[148:149], v[20:21], v[234:235]
	v_fma_f64 v[20:21], v[150:151], v[20:21], -v[22:23]
	s_waitcnt lgkmcnt(6)
	v_mul_f64 v[22:23], v[184:185], v[50:51]
	v_fma_f64 v[128:129], v[128:129], v[52:53], v[230:231]
	v_fma_f64 v[52:53], v[130:131], v[52:53], -v[54:55]
	v_mul_f64 v[54:55], v[162:163], v[26:27]
	v_mul_f64 v[130:131], v[170:171], v[18:19]
	v_fma_f64 v[136:137], v[136:137], v[40:41], v[232:233]
	v_fma_f64 v[40:41], v[138:139], v[40:41], -v[42:43]
	v_mul_f64 v[18:19], v[168:169], v[18:19]
	v_mul_f64 v[42:43], v[174:175], v[38:39]
	;; [unrolled: 1-line block ×3, first 2 shown]
	v_fma_f64 v[118:119], v[118:119], v[68:69], -v[70:71]
	v_mul_f64 v[26:27], v[160:161], v[26:27]
	v_mul_f64 v[138:139], v[182:183], v[30:31]
	;; [unrolled: 1-line block ×4, first 2 shown]
	v_fma_f64 v[50:51], v[144:145], v[8:9], v[62:63]
	v_fma_f64 v[8:9], v[146:147], v[8:9], -v[10:11]
	v_fma_f64 v[62:63], v[152:153], v[0:1], v[126:127]
	v_fma_f64 v[126:127], v[154:155], v[0:1], -v[2:3]
	;; [unrolled: 2-line block ×4, first 2 shown]
	v_fma_f64 v[14:15], v[176:177], v[44:45], v[34:35]
	ds_read_b128 v[74:77], v255 offset:12960
	ds_read_b128 v[108:111], v255 offset:15120
	v_fma_f64 v[4:5], v[160:161], v[24:25], v[54:55]
	v_fma_f64 v[54:55], v[168:169], v[16:17], v[130:131]
	ds_read_b128 v[66:69], v255 offset:17280
	ds_read_b128 v[70:73], v255 offset:19440
	s_waitcnt lgkmcnt(6)
	v_add_f64 v[150:151], v[208:209], v[52:53]
	v_fma_f64 v[130:131], v[170:171], v[16:17], -v[18:19]
	v_fma_f64 v[10:11], v[172:173], v[36:37], v[42:43]
	v_fma_f64 v[16:17], v[178:179], v[44:45], -v[46:47]
	v_fma_f64 v[44:45], v[186:187], v[48:49], -v[22:23]
	v_add_f64 v[18:19], v[85:86], v[112:113]
	v_add_f64 v[22:23], v[78:79], v[114:115]
	v_fma_f64 v[12:13], v[174:175], v[36:37], -v[38:39]
	v_fma_f64 v[6:7], v[162:163], v[24:25], -v[26:27]
	v_fma_f64 v[36:37], v[180:181], v[28:29], v[138:139]
	v_fma_f64 v[38:39], v[182:183], v[28:29], -v[30:31]
	v_add_f64 v[24:25], v[190:191], v[78:79]
	v_add_f64 v[26:27], v[188:189], v[85:86]
	;; [unrolled: 1-line block ×4, first 2 shown]
	v_fma_f64 v[42:43], v[184:185], v[48:49], v[140:141]
	v_add_f64 v[46:47], v[78:79], -v[114:115]
	v_add_f64 v[48:49], v[85:86], -v[112:113]
	v_add_f64 v[34:35], v[200:201], v[118:119]
	v_add_f64 v[78:79], v[198:199], v[116:117]
	v_add_f64 v[85:86], v[118:119], -v[64:65]
	v_add_f64 v[118:119], v[124:125], v[132:133]
	v_add_f64 v[138:139], v[60:61], v[56:57]
	;; [unrolled: 1-line block ×3, first 2 shown]
	s_waitcnt lgkmcnt(5)
	v_add_f64 v[158:159], v[212:213], v[32:33]
	v_add_f64 v[162:163], v[32:33], -v[20:21]
	v_add_f64 v[32:33], v[50:51], v[62:63]
	s_waitcnt lgkmcnt(1)
	v_add_f64 v[240:241], v[66:67], v[10:11]
	s_waitcnt lgkmcnt(0)
	v_add_f64 v[248:249], v[70:71], v[14:15]
	v_fma_f64 v[188:189], v[18:19], -0.5, v[188:189]
	v_fma_f64 v[190:191], v[22:23], -0.5, v[190:191]
	v_add_f64 v[238:239], v[68:69], v[12:13]
	v_add_f64 v[246:247], v[72:73], v[16:17]
	v_add_f64 v[116:117], v[116:117], -v[120:121]
	v_add_f64 v[140:141], v[204:205], v[60:61]
	v_add_f64 v[144:145], v[202:203], v[124:125]
	;; [unrolled: 1-line block ×7, first 2 shown]
	v_add_f64 v[184:185], v[50:51], -v[62:63]
	v_add_f64 v[186:187], v[2:3], -v[134:135]
	v_add_f64 v[50:51], v[110:111], v[6:7]
	v_add_f64 v[250:251], v[0:1], -v[58:59]
	v_add_f64 v[2:3], v[24:25], v[114:115]
	v_add_f64 v[0:1], v[26:27], v[112:113]
	v_fma_f64 v[112:113], v[28:29], -0.5, v[198:199]
	v_fma_f64 v[114:115], v[30:31], -0.5, v[200:201]
	v_add_f64 v[148:149], v[52:53], v[40:41]
	v_add_f64 v[154:155], v[52:53], -v[40:41]
	v_add_f64 v[52:53], v[122:123], v[142:143]
	v_add_f64 v[230:231], v[108:109], v[4:5]
	v_add_f64 v[60:61], v[60:61], -v[56:57]
	v_add_f64 v[124:125], v[124:125], -v[132:133]
	v_add_f64 v[174:175], v[4:5], v[54:55]
	v_add_f64 v[176:177], v[6:7], v[130:131]
	v_add_f64 v[252:253], v[6:7], -v[130:131]
	v_add_f64 v[254:255], v[4:5], -v[54:55]
	v_add_f64 v[6:7], v[34:35], v[64:65]
	v_add_f64 v[4:5], v[78:79], v[120:121]
	v_fma_f64 v[64:65], v[118:119], -0.5, v[202:203]
	v_fma_f64 v[78:79], v[138:139], -0.5, v[204:205]
	v_add_f64 v[232:233], v[10:11], v[36:37]
	v_add_f64 v[242:243], v[14:15], v[42:43]
	v_add_f64 v[236:237], v[14:15], -v[42:43]
	v_add_f64 v[14:15], v[150:151], v[40:41]
	v_fma_f64 v[138:139], v[32:33], -0.5, v[214:215]
	v_add_f64 v[32:33], v[240:241], v[36:37]
	v_fma_f64 v[40:41], v[46:47], s[4:5], v[188:189]
	v_add_f64 v[234:235], v[12:13], v[38:39]
	v_add_f64 v[244:245], v[16:17], v[44:45]
	v_add_f64 v[218:219], v[12:13], -v[38:39]
	v_add_f64 v[82:83], v[16:17], -v[44:45]
	v_add_f64 v[34:35], v[238:239], v[38:39]
	v_add_f64 v[38:39], v[246:247], v[44:45]
	v_fma_f64 v[44:45], v[46:47], s[6:7], v[188:189]
	v_fma_f64 v[46:47], v[48:49], s[4:5], v[190:191]
	v_add_f64 v[164:165], v[8:9], v[126:127]
	v_add_f64 v[166:167], v[216:217], v[8:9]
	v_add_f64 v[182:183], v[8:9], -v[126:127]
	v_add_f64 v[8:9], v[144:145], v[132:133]
	v_add_f64 v[30:31], v[50:51], v[130:131]
	v_fma_f64 v[50:51], v[116:117], s[6:7], v[114:115]
	v_fma_f64 v[132:133], v[52:53], -0.5, v[210:211]
	v_add_f64 v[28:29], v[230:231], v[54:55]
	v_fma_f64 v[52:53], v[85:86], s[6:7], v[112:113]
	v_fma_f64 v[54:55], v[116:117], s[4:5], v[114:115]
	v_add_f64 v[24:25], v[180:181], v[58:59]
	v_fma_f64 v[58:59], v[124:125], s[6:7], v[78:79]
	v_add_f64 v[18:19], v[158:159], v[20:21]
	v_add_f64 v[20:21], v[168:169], v[62:63]
	v_fma_f64 v[62:63], v[124:125], s[4:5], v[78:79]
	s_waitcnt_vscnt null, 0x0
	s_barrier
	buffer_gl0_inv
	v_add_f64 v[146:147], v[128:129], v[136:137]
	v_add_f64 v[152:153], v[206:207], v[128:129]
	v_add_f64 v[128:129], v[128:129], -v[136:137]
	v_fma_f64 v[120:121], v[148:149], -0.5, v[208:209]
	v_add_f64 v[160:161], v[210:211], v[122:123]
	v_add_f64 v[122:123], v[122:123], -v[142:143]
	v_fma_f64 v[130:131], v[232:233], -0.5, v[66:67]
	v_add_f64 v[26:27], v[178:179], v[134:135]
	v_fma_f64 v[134:135], v[234:235], -0.5, v[68:69]
	v_fma_f64 v[148:149], v[242:243], -0.5, v[70:71]
	v_add_f64 v[22:23], v[166:167], v[126:127]
	v_fma_f64 v[126:127], v[170:171], -0.5, v[74:75]
	v_fma_f64 v[150:151], v[244:245], -0.5, v[72:73]
	v_fma_f64 v[72:73], v[182:183], s[6:7], v[138:139]
	v_fma_f64 v[144:145], v[174:175], -0.5, v[108:109]
	v_fma_f64 v[118:119], v[146:147], -0.5, v[206:207]
	v_add_f64 v[12:13], v[152:153], v[136:137]
	v_fma_f64 v[136:137], v[156:157], -0.5, v[212:213]
	v_fma_f64 v[66:67], v[128:129], s[6:7], v[120:121]
	v_fma_f64 v[70:71], v[128:129], s[4:5], v[120:121]
	v_add_f64 v[16:17], v[160:161], v[142:143]
	v_fma_f64 v[142:143], v[172:173], -0.5, v[76:77]
	v_fma_f64 v[146:147], v[176:177], -0.5, v[110:111]
	v_fma_f64 v[120:121], v[218:219], s[4:5], v[130:131]
	v_fma_f64 v[124:125], v[218:219], s[6:7], v[130:131]
	v_fma_f64 v[128:129], v[82:83], s[4:5], v[148:149]
	v_fma_f64 v[76:77], v[186:187], s[4:5], v[126:127]
	v_fma_f64 v[108:109], v[186:187], s[6:7], v[126:127]
	v_fma_f64 v[130:131], v[236:237], s[6:7], v[150:151]
	v_fma_f64 v[116:117], v[252:253], s[6:7], v[144:145]
	v_fma_f64 v[68:69], v[154:155], s[6:7], v[118:119]
	v_fma_f64 v[78:79], v[250:251], s[6:7], v[142:143]
	v_fma_f64 v[110:111], v[250:251], s[4:5], v[142:143]
	v_fma_f64 v[114:115], v[254:255], s[6:7], v[146:147]
	v_add_co_ci_u32_e64 v227, s0, 0, v81, s0
	v_add_co_u32 v228, s0, 0x53c0, v80
	v_add_co_ci_u32_e64 v229, s0, 0, v81, s0
	v_add_f64 v[80:81], v[10:11], -v[36:37]
	v_add_f64 v[36:37], v[248:249], v[42:43]
	v_fma_f64 v[42:43], v[48:49], s[6:7], v[190:191]
	v_add_f64 v[10:11], v[140:141], v[56:57]
	v_fma_f64 v[48:49], v[85:86], s[4:5], v[112:113]
	v_fma_f64 v[56:57], v[60:61], s[4:5], v[64:65]
	;; [unrolled: 1-line block ×3, first 2 shown]
	ds_write_b128 v87, v[0:3]
	ds_write_b128 v87, v[4:7] offset:2160
	ds_write_b128 v87, v[8:11] offset:4320
	ds_write_b128 v87, v[40:43] offset:7200
	ds_write_b128 v87, v[44:47] offset:14400
	ds_write_b128 v87, v[48:51] offset:9360
	ds_write_b128 v87, v[52:55] offset:16560
	ds_write_b128 v87, v[56:59] offset:11520
	ds_write_b128 v87, v[60:63] offset:18720
	buffer_load_dword v40, off, s[24:27], 0 offset:72 ; 4-byte Folded Reload
	v_fma_f64 v[140:141], v[164:165], -0.5, v[216:217]
	v_fma_f64 v[64:65], v[154:155], s[4:5], v[118:119]
	v_fma_f64 v[0:1], v[162:163], s[4:5], v[132:133]
	;; [unrolled: 1-line block ×14, first 2 shown]
	s_waitcnt vmcnt(0)
	ds_write_b128 v40, v[12:15]
	ds_write_b128 v40, v[64:67] offset:7200
	ds_write_b128 v40, v[68:71] offset:14400
	;; [unrolled: 1-line block ×8, first 2 shown]
	buffer_load_dword v0, off, s[24:27], 0 offset:88 ; 4-byte Folded Reload
	s_waitcnt vmcnt(0)
	ds_write_b128 v0, v[24:27]
	ds_write_b128 v0, v[76:79] offset:7200
	ds_write_b128 v0, v[108:111] offset:14400
	;; [unrolled: 1-line block ×5, first 2 shown]
	buffer_load_dword v0, off, s[24:27], 0 offset:80 ; 4-byte Folded Reload
	s_waitcnt vmcnt(0)
	ds_write_b128 v0, v[32:35] offset:43200
	ds_write_b128 v0, v[120:123] offset:50400
	;; [unrolled: 1-line block ×3, first 2 shown]
	buffer_load_dword v0, off, s[24:27], 0 offset:76 ; 4-byte Folded Reload
	v_add_co_u32 v20, s0, s8, v196
	v_add_co_ci_u32_e64 v21, s0, s9, v197, s0
	s_waitcnt vmcnt(0)
	ds_write_b128 v0, v[36:39] offset:43200
	ds_write_b128 v0, v[128:131] offset:50400
	;; [unrolled: 1-line block ×3, first 2 shown]
	s_waitcnt lgkmcnt(0)
	s_barrier
	buffer_gl0_inv
	s_clause 0x3
	global_load_dwordx4 v[230:233], v[106:107], off offset:960
	global_load_dwordx4 v[80:83], v[104:105], off offset:16
	;; [unrolled: 1-line block ×4, first 2 shown]
	v_add_co_u32 v24, s0, 0x5000, v20
	s_clause 0x3
	global_load_dwordx4 v[28:31], v[92:93], off offset:960
	global_load_dwordx4 v[8:11], v[94:95], off offset:16
	;; [unrolled: 1-line block ×4, first 2 shown]
	v_add_co_ci_u32_e64 v25, s0, 0, v21, s0
	v_add_co_u32 v26, s0, 0x53c0, v20
	v_add_co_ci_u32_e64 v27, s0, 0, v21, s0
	v_add_co_u32 v50, s0, s8, v224
	v_add_co_ci_u32_e64 v51, s0, s9, v225, s0
	s_clause 0x3
	global_load_dwordx4 v[44:47], v[100:101], off offset:960
	global_load_dwordx4 v[32:35], v[102:103], off offset:16
	;; [unrolled: 1-line block ×4, first 2 shown]
	v_add_co_u32 v48, s0, 0x5000, v50
	v_add_co_ci_u32_e64 v49, s0, 0, v51, s0
	s_clause 0x5
	global_load_dwordx4 v[36:39], v[220:221], off offset:960
	global_load_dwordx4 v[20:23], v[222:223], off offset:16
	;; [unrolled: 1-line block ×6, first 2 shown]
	v_add_co_u32 v24, s0, 0x53c0, v50
	v_add_co_ci_u32_e64 v25, s0, 0, v51, s0
	s_clause 0x1
	global_load_dwordx4 v[72:75], v[48:49], off offset:960
	global_load_dwordx4 v[76:79], v[24:25], off offset:16
	ds_read_b128 v[88:91], v87 offset:21600
	ds_read_b128 v[92:95], v87 offset:23760
	;; [unrolled: 1-line block ×20, first 2 shown]
	ds_read_b128 v[24:27], v87
	ds_read_b128 v[48:51], v87 offset:2160
	ds_read_b128 v[168:171], v87 offset:4320
	;; [unrolled: 1-line block ×9, first 2 shown]
	s_waitcnt vmcnt(0) lgkmcnt(0)
	s_barrier
	buffer_gl0_inv
	v_mul_f64 v[192:193], v[90:91], v[232:233]
	v_mul_f64 v[84:85], v[88:89], v[232:233]
	;; [unrolled: 1-line block ×24, first 2 shown]
	v_fma_f64 v[88:89], v[88:89], v[230:231], v[192:193]
	v_fma_f64 v[84:85], v[90:91], v[230:231], -v[84:85]
	v_mul_f64 v[192:193], v[138:139], v[38:39]
	v_mul_f64 v[38:39], v[136:137], v[38:39]
	v_mul_f64 v[90:91], v[146:147], v[22:23]
	v_fma_f64 v[96:97], v[96:97], v[80:81], v[194:195]
	v_fma_f64 v[80:81], v[98:99], v[80:81], -v[82:83]
	v_mul_f64 v[22:23], v[144:145], v[22:23]
	v_mul_f64 v[82:83], v[142:143], v[42:43]
	v_mul_f64 v[42:43], v[140:141], v[42:43]
	v_mul_f64 v[98:99], v[150:151], v[58:59]
	v_fma_f64 v[92:93], v[92:93], v[68:69], v[196:197]
	v_fma_f64 v[68:69], v[94:95], v[68:69], -v[70:71]
	v_mul_f64 v[58:59], v[148:149], v[58:59]
	;; [unrolled: 6-line block ×4, first 2 shown]
	v_fma_f64 v[78:79], v[112:113], v[8:9], v[210:211]
	v_fma_f64 v[8:9], v[114:115], v[8:9], -v[10:11]
	v_fma_f64 v[10:11], v[108:109], v[4:5], v[212:213]
	v_fma_f64 v[4:5], v[110:111], v[4:5], -v[6:7]
	;; [unrolled: 2-line block ×15, first 2 shown]
	v_add_f64 v[30:31], v[88:89], v[96:97]
	v_add_f64 v[70:71], v[84:85], v[80:81]
	;; [unrolled: 1-line block ×3, first 2 shown]
	v_add_f64 v[76:77], v[84:85], -v[80:81]
	v_add_f64 v[84:85], v[92:93], v[100:101]
	v_add_f64 v[226:227], v[68:69], v[52:53]
	;; [unrolled: 1-line block ×7, first 2 shown]
	v_add_f64 v[112:113], v[28:29], -v[8:9]
	v_add_f64 v[28:29], v[10:11], v[106:107]
	v_add_f64 v[114:115], v[4:5], v[108:109]
	v_add_f64 v[82:83], v[88:89], -v[96:97]
	v_add_f64 v[88:89], v[50:51], v[68:69]
	v_add_f64 v[116:117], v[174:175], v[4:5]
	;; [unrolled: 1-line block ×15, first 2 shown]
	v_add_f64 v[212:213], v[56:57], -v[54:55]
	v_add_f64 v[56:57], v[60:61], v[64:65]
	v_add_f64 v[216:217], v[62:63], v[66:67]
	;; [unrolled: 1-line block ×13, first 2 shown]
	v_add_f64 v[222:223], v[62:63], -v[66:67]
	v_add_f64 v[224:225], v[60:61], -v[64:65]
	v_fma_f64 v[60:61], v[30:31], -0.5, v[24:25]
	v_fma_f64 v[62:63], v[70:71], -0.5, v[26:27]
	v_add_f64 v[68:69], v[68:69], -v[52:53]
	v_add_f64 v[92:93], v[92:93], -v[100:101]
	;; [unrolled: 1-line block ×3, first 2 shown]
	v_add_f64 v[2:3], v[72:73], v[80:81]
	v_fma_f64 v[70:71], v[84:85], -0.5, v[48:49]
	v_fma_f64 v[72:73], v[226:227], -0.5, v[50:51]
	v_add_f64 v[104:105], v[104:105], -v[78:79]
	v_add_f64 v[134:135], v[0:1], -v[44:45]
	v_add_f64 v[0:1], v[74:75], v[96:97]
	v_fma_f64 v[74:75], v[94:95], -0.5, v[168:169]
	v_fma_f64 v[80:81], v[98:99], -0.5, v[170:171]
	v_add_f64 v[120:121], v[4:5], -v[108:109]
	v_add_f64 v[122:123], v[10:11], -v[106:107]
	v_add_f64 v[10:11], v[102:103], v[8:9]
	v_add_f64 v[8:9], v[110:111], v[78:79]
	v_fma_f64 v[78:79], v[28:29], -0.5, v[172:173]
	v_fma_f64 v[84:85], v[114:115], -0.5, v[174:175]
	v_add_f64 v[146:147], v[6:7], -v[34:35]
	v_add_f64 v[156:157], v[14:15], -v[38:39]
	v_add_f64 v[6:7], v[88:89], v[52:53]
	v_add_f64 v[14:15], v[116:117], v[108:109]
	v_fma_f64 v[108:109], v[124:125], -0.5, v[176:177]
	v_fma_f64 v[88:89], v[126:127], -0.5, v[178:179]
	v_add_f64 v[144:145], v[16:17], -v[46:47]
	v_add_f64 v[4:5], v[90:91], v[100:101]
	v_fma_f64 v[90:91], v[136:137], -0.5, v[180:181]
	v_fma_f64 v[94:95], v[138:139], -0.5, v[182:183]
	v_add_f64 v[158:159], v[12:13], -v[36:37]
	v_add_f64 v[192:193], v[20:21], -v[42:43]
	;; [unrolled: 1-line block ×4, first 2 shown]
	v_add_f64 v[12:13], v[118:119], v[106:107]
	v_fma_f64 v[96:97], v[148:149], -0.5, v[184:185]
	v_fma_f64 v[98:99], v[150:151], -0.5, v[186:187]
	;; [unrolled: 1-line block ×8, first 2 shown]
	v_add_f64 v[18:19], v[128:129], v[32:33]
	v_add_f64 v[16:17], v[130:131], v[44:45]
	;; [unrolled: 1-line block ×12, first 2 shown]
	v_fma_f64 v[40:41], v[76:77], s[4:5], v[60:61]
	v_fma_f64 v[42:43], v[82:83], s[6:7], v[62:63]
	;; [unrolled: 1-line block ×40, first 2 shown]
	ds_write_b128 v87, v[0:3]
	ds_write_b128 v87, v[4:7] offset:2160
	ds_write_b128 v87, v[8:11] offset:4320
	ds_write_b128 v87, v[12:15] offset:6480
	ds_write_b128 v87, v[16:19] offset:8640
	ds_write_b128 v87, v[20:23] offset:10800
	ds_write_b128 v87, v[24:27] offset:12960
	ds_write_b128 v87, v[28:31] offset:15120
	ds_write_b128 v87, v[32:35] offset:17280
	ds_write_b128 v87, v[36:39] offset:19440
	ds_write_b128 v87, v[40:43] offset:21600
	ds_write_b128 v87, v[44:47] offset:43200
	ds_write_b128 v87, v[48:51] offset:23760
	ds_write_b128 v87, v[52:55] offset:45360
	ds_write_b128 v87, v[56:59] offset:25920
	ds_write_b128 v87, v[60:63] offset:47520
	ds_write_b128 v87, v[64:67] offset:28080
	ds_write_b128 v87, v[68:71] offset:49680
	ds_write_b128 v87, v[72:75] offset:30240
	ds_write_b128 v87, v[76:79] offset:51840
	ds_write_b128 v87, v[80:83] offset:32400
	ds_write_b128 v87, v[120:123] offset:54000
	ds_write_b128 v87, v[88:91] offset:34560
	ds_write_b128 v87, v[92:95] offset:56160
	ds_write_b128 v87, v[96:99] offset:36720
	ds_write_b128 v87, v[100:103] offset:58320
	ds_write_b128 v87, v[104:107] offset:38880
	ds_write_b128 v87, v[108:111] offset:60480
	ds_write_b128 v87, v[112:115] offset:41040
	ds_write_b128 v87, v[116:119] offset:62640
	s_waitcnt lgkmcnt(0)
	s_barrier
	buffer_gl0_inv
	s_and_saveexec_b32 s0, vcc_lo
	s_cbranch_execz .LBB0_19
; %bb.18:
	s_clause 0x3
	buffer_load_dword v32, off, s[24:27], 0 offset:24
	buffer_load_dword v33, off, s[24:27], 0 offset:28
	buffer_load_dword v0, off, s[24:27], 0
	buffer_load_dword v1, off, s[24:27], 0 offset:4
	s_waitcnt vmcnt(3)
	v_lshl_add_u32 v26, v32, 4, 0
	s_waitcnt vmcnt(0)
	v_mov_b32_e32 v29, v1
	v_mov_b32_e32 v33, v1
	v_add_nc_u32_e32 v28, 0x87, v32
	ds_read_b128 v[0:3], v26
	s_clause 0x1
	buffer_load_dword v4, off, s[24:27], 0 offset:32
	buffer_load_dword v5, off, s[24:27], 0 offset:36
	v_lshlrev_b64 v[18:19], 4, v[32:33]
	v_lshlrev_b64 v[16:17], 4, v[28:29]
	v_add_nc_u32_e32 v28, 0x10e, v32
	v_lshlrev_b64 v[20:21], 4, v[28:29]
	v_add_nc_u32_e32 v28, 0x195, v32
	;; [unrolled: 2-line block ×3, first 2 shown]
	s_waitcnt vmcnt(1)
	v_add_co_u32 v30, vcc_lo, s2, v4
	s_waitcnt vmcnt(0)
	v_add_co_ci_u32_e32 v31, vcc_lo, s3, v5, vcc_lo
	ds_read_b128 v[4:7], v26 offset:2160
	ds_read_b128 v[8:11], v26 offset:4320
	;; [unrolled: 1-line block ×3, first 2 shown]
	v_add_co_u32 v18, vcc_lo, v30, v18
	v_add_co_ci_u32_e32 v19, vcc_lo, v31, v19, vcc_lo
	v_add_co_u32 v16, vcc_lo, v30, v16
	v_add_co_ci_u32_e32 v17, vcc_lo, v31, v17, vcc_lo
	s_waitcnt lgkmcnt(3)
	global_store_dwordx4 v[18:19], v[0:3], off
	v_add_co_u32 v0, vcc_lo, v30, v20
	v_add_co_ci_u32_e32 v1, vcc_lo, v31, v21, vcc_lo
	v_add_co_u32 v2, vcc_lo, v30, v22
	v_add_co_ci_u32_e32 v3, vcc_lo, v31, v23, vcc_lo
	s_waitcnt lgkmcnt(2)
	global_store_dwordx4 v[16:17], v[4:7], off
	v_lshlrev_b64 v[16:17], 4, v[28:29]
	v_add_nc_u32_e32 v28, 0x2a3, v32
	s_waitcnt lgkmcnt(1)
	global_store_dwordx4 v[0:1], v[8:11], off
	s_waitcnt lgkmcnt(0)
	global_store_dwordx4 v[2:3], v[12:15], off
	ds_read_b128 v[0:3], v26 offset:8640
	ds_read_b128 v[4:7], v26 offset:10800
	ds_read_b128 v[8:11], v26 offset:12960
	v_lshlrev_b64 v[12:13], 4, v[28:29]
	v_add_nc_u32_e32 v28, 0x32a, v32
	v_add_co_u32 v14, vcc_lo, v30, v16
	v_add_co_ci_u32_e32 v15, vcc_lo, v31, v17, vcc_lo
	v_lshlrev_b64 v[16:17], 4, v[28:29]
	v_add_co_u32 v12, vcc_lo, v30, v12
	v_add_co_ci_u32_e32 v13, vcc_lo, v31, v13, vcc_lo
	v_add_nc_u32_e32 v28, 0x3b1, v32
	v_add_co_u32 v16, vcc_lo, v30, v16
	v_add_co_ci_u32_e32 v17, vcc_lo, v31, v17, vcc_lo
	v_lshlrev_b64 v[18:19], 4, v[28:29]
	v_add_nc_u32_e32 v28, 0x438, v32
	s_waitcnt lgkmcnt(2)
	global_store_dwordx4 v[14:15], v[0:3], off
	s_waitcnt lgkmcnt(1)
	global_store_dwordx4 v[12:13], v[4:7], off
	;; [unrolled: 2-line block ×3, first 2 shown]
	ds_read_b128 v[0:3], v26 offset:15120
	ds_read_b128 v[4:7], v26 offset:17280
	;; [unrolled: 1-line block ×3, first 2 shown]
	v_lshlrev_b64 v[12:13], 4, v[28:29]
	v_add_nc_u32_e32 v28, 0x4bf, v32
	v_add_co_u32 v14, vcc_lo, v30, v18
	v_add_co_ci_u32_e32 v15, vcc_lo, v31, v19, vcc_lo
	v_lshlrev_b64 v[16:17], 4, v[28:29]
	v_add_co_u32 v12, vcc_lo, v30, v12
	v_add_co_ci_u32_e32 v13, vcc_lo, v31, v13, vcc_lo
	v_add_nc_u32_e32 v28, 0x546, v32
	v_add_co_u32 v16, vcc_lo, v30, v16
	v_add_co_ci_u32_e32 v17, vcc_lo, v31, v17, vcc_lo
	s_waitcnt lgkmcnt(2)
	global_store_dwordx4 v[14:15], v[0:3], off
	v_lshlrev_b64 v[14:15], 4, v[28:29]
	v_add_nc_u32_e32 v28, 0x5cd, v32
	s_waitcnt lgkmcnt(1)
	global_store_dwordx4 v[12:13], v[4:7], off
	s_waitcnt lgkmcnt(0)
	global_store_dwordx4 v[16:17], v[8:11], off
	ds_read_b128 v[0:3], v26 offset:21600
	ds_read_b128 v[4:7], v26 offset:23760
	;; [unrolled: 1-line block ×3, first 2 shown]
	v_lshlrev_b64 v[12:13], 4, v[28:29]
	v_add_nc_u32_e32 v28, 0x654, v32
	v_add_co_u32 v14, vcc_lo, v30, v14
	v_add_co_ci_u32_e32 v15, vcc_lo, v31, v15, vcc_lo
	v_lshlrev_b64 v[16:17], 4, v[28:29]
	v_add_co_u32 v12, vcc_lo, v30, v12
	v_add_co_ci_u32_e32 v13, vcc_lo, v31, v13, vcc_lo
	v_add_nc_u32_e32 v28, 0x6db, v32
	v_add_co_u32 v16, vcc_lo, v30, v16
	v_add_co_ci_u32_e32 v17, vcc_lo, v31, v17, vcc_lo
	s_waitcnt lgkmcnt(2)
	global_store_dwordx4 v[14:15], v[0:3], off
	s_waitcnt lgkmcnt(1)
	global_store_dwordx4 v[12:13], v[4:7], off
	v_lshlrev_b64 v[18:19], 4, v[28:29]
	v_add_nc_u32_e32 v28, 0x762, v32
	ds_read_b128 v[0:3], v26 offset:28080
	s_waitcnt lgkmcnt(1)
	global_store_dwordx4 v[16:17], v[8:11], off
	ds_read_b128 v[4:7], v26 offset:30240
	ds_read_b128 v[8:11], v26 offset:32400
	v_lshlrev_b64 v[12:13], 4, v[28:29]
	v_add_nc_u32_e32 v28, 0x7e9, v32
	v_add_co_u32 v14, vcc_lo, v30, v18
	v_add_co_ci_u32_e32 v15, vcc_lo, v31, v19, vcc_lo
	v_lshlrev_b64 v[16:17], 4, v[28:29]
	v_add_co_u32 v12, vcc_lo, v30, v12
	v_add_co_ci_u32_e32 v13, vcc_lo, v31, v13, vcc_lo
	v_add_nc_u32_e32 v28, 0x870, v32
	v_add_co_u32 v16, vcc_lo, v30, v16
	v_add_co_ci_u32_e32 v17, vcc_lo, v31, v17, vcc_lo
	s_waitcnt lgkmcnt(2)
	global_store_dwordx4 v[14:15], v[0:3], off
	v_lshlrev_b64 v[14:15], 4, v[28:29]
	v_add_nc_u32_e32 v28, 0x8f7, v32
	s_waitcnt lgkmcnt(1)
	global_store_dwordx4 v[12:13], v[4:7], off
	s_waitcnt lgkmcnt(0)
	global_store_dwordx4 v[16:17], v[8:11], off
	ds_read_b128 v[0:3], v26 offset:34560
	ds_read_b128 v[4:7], v26 offset:36720
	;; [unrolled: 1-line block ×3, first 2 shown]
	v_lshlrev_b64 v[12:13], 4, v[28:29]
	v_add_nc_u32_e32 v28, 0x97e, v32
	v_add_co_u32 v14, vcc_lo, v30, v14
	v_add_co_ci_u32_e32 v15, vcc_lo, v31, v15, vcc_lo
	v_lshlrev_b64 v[16:17], 4, v[28:29]
	v_add_co_u32 v12, vcc_lo, v30, v12
	v_add_co_ci_u32_e32 v13, vcc_lo, v31, v13, vcc_lo
	v_add_nc_u32_e32 v28, 0xa05, v32
	v_add_co_u32 v16, vcc_lo, v30, v16
	v_add_co_ci_u32_e32 v17, vcc_lo, v31, v17, vcc_lo
	v_lshlrev_b64 v[18:19], 4, v[28:29]
	v_add_nc_u32_e32 v28, 0xa8c, v32
	s_waitcnt lgkmcnt(2)
	global_store_dwordx4 v[14:15], v[0:3], off
	s_waitcnt lgkmcnt(1)
	global_store_dwordx4 v[12:13], v[4:7], off
	;; [unrolled: 2-line block ×3, first 2 shown]
	ds_read_b128 v[0:3], v26 offset:41040
	ds_read_b128 v[4:7], v26 offset:43200
	;; [unrolled: 1-line block ×3, first 2 shown]
	v_lshlrev_b64 v[12:13], 4, v[28:29]
	v_add_nc_u32_e32 v28, 0xb13, v32
	v_add_co_u32 v14, vcc_lo, v30, v18
	v_add_co_ci_u32_e32 v15, vcc_lo, v31, v19, vcc_lo
	v_lshlrev_b64 v[16:17], 4, v[28:29]
	v_add_co_u32 v12, vcc_lo, v30, v12
	v_add_co_ci_u32_e32 v13, vcc_lo, v31, v13, vcc_lo
	v_add_nc_u32_e32 v28, 0xb9a, v32
	v_add_co_u32 v16, vcc_lo, v30, v16
	v_add_co_ci_u32_e32 v17, vcc_lo, v31, v17, vcc_lo
	s_waitcnt lgkmcnt(2)
	global_store_dwordx4 v[14:15], v[0:3], off
	s_waitcnt lgkmcnt(1)
	global_store_dwordx4 v[12:13], v[4:7], off
	;; [unrolled: 2-line block ×3, first 2 shown]
	v_lshlrev_b64 v[14:15], 4, v[28:29]
	v_add_nc_u32_e32 v28, 0xc21, v32
	ds_read_b128 v[0:3], v26 offset:47520
	ds_read_b128 v[4:7], v26 offset:49680
	;; [unrolled: 1-line block ×3, first 2 shown]
	v_lshlrev_b64 v[12:13], 4, v[28:29]
	v_add_nc_u32_e32 v28, 0xca8, v32
	v_add_co_u32 v14, vcc_lo, v30, v14
	v_add_co_ci_u32_e32 v15, vcc_lo, v31, v15, vcc_lo
	v_lshlrev_b64 v[16:17], 4, v[28:29]
	v_add_nc_u32_e32 v28, 0xd2f, v32
	v_add_co_u32 v12, vcc_lo, v30, v12
	v_add_co_ci_u32_e32 v13, vcc_lo, v31, v13, vcc_lo
	v_lshlrev_b64 v[18:19], 4, v[28:29]
	v_add_nc_u32_e32 v28, 0xdb6, v32
	v_add_co_u32 v16, vcc_lo, v30, v16
	s_waitcnt lgkmcnt(2)
	global_store_dwordx4 v[14:15], v[0:3], off
	s_waitcnt lgkmcnt(1)
	global_store_dwordx4 v[12:13], v[4:7], off
	v_add_co_ci_u32_e32 v17, vcc_lo, v31, v17, vcc_lo
	v_lshlrev_b64 v[4:5], 4, v[28:29]
	v_add_co_u32 v20, vcc_lo, v30, v18
	v_add_nc_u32_e32 v28, 0xe3d, v32
	v_add_co_ci_u32_e32 v21, vcc_lo, v31, v19, vcc_lo
	v_add_co_u32 v22, vcc_lo, v30, v4
	s_waitcnt lgkmcnt(0)
	global_store_dwordx4 v[16:17], v[8:11], off
	ds_read_b128 v[0:3], v26 offset:54000
	v_add_co_ci_u32_e32 v23, vcc_lo, v31, v5, vcc_lo
	ds_read_b128 v[4:7], v26 offset:56160
	ds_read_b128 v[8:11], v26 offset:58320
	ds_read_b128 v[12:15], v26 offset:60480
	ds_read_b128 v[16:19], v26 offset:62640
	v_lshlrev_b64 v[24:25], 4, v[28:29]
	v_add_nc_u32_e32 v28, 0xec4, v32
	v_lshlrev_b64 v[26:27], 4, v[28:29]
	v_add_nc_u32_e32 v28, 0xf4b, v32
	v_add_co_u32 v24, vcc_lo, v30, v24
	v_add_co_ci_u32_e32 v25, vcc_lo, v31, v25, vcc_lo
	v_lshlrev_b64 v[28:29], 4, v[28:29]
	v_add_co_u32 v26, vcc_lo, v30, v26
	v_add_co_ci_u32_e32 v27, vcc_lo, v31, v27, vcc_lo
	v_add_co_u32 v28, vcc_lo, v30, v28
	v_add_co_ci_u32_e32 v29, vcc_lo, v31, v29, vcc_lo
	s_waitcnt lgkmcnt(4)
	global_store_dwordx4 v[20:21], v[0:3], off
	s_waitcnt lgkmcnt(3)
	global_store_dwordx4 v[22:23], v[4:7], off
	;; [unrolled: 2-line block ×5, first 2 shown]
.LBB0_19:
	s_endpgm
	.section	.rodata,"a",@progbits
	.p2align	6, 0x0
	.amdhsa_kernel fft_rtc_back_len4050_factors_10_5_3_3_3_3_wgs_135_tpt_135_halfLds_dp_ip_CI_unitstride_sbrr_C2R_dirReg
		.amdhsa_group_segment_fixed_size 0
		.amdhsa_private_segment_fixed_size 104
		.amdhsa_kernarg_size 88
		.amdhsa_user_sgpr_count 6
		.amdhsa_user_sgpr_private_segment_buffer 1
		.amdhsa_user_sgpr_dispatch_ptr 0
		.amdhsa_user_sgpr_queue_ptr 0
		.amdhsa_user_sgpr_kernarg_segment_ptr 1
		.amdhsa_user_sgpr_dispatch_id 0
		.amdhsa_user_sgpr_flat_scratch_init 0
		.amdhsa_user_sgpr_private_segment_size 0
		.amdhsa_wavefront_size32 1
		.amdhsa_uses_dynamic_stack 0
		.amdhsa_system_sgpr_private_segment_wavefront_offset 1
		.amdhsa_system_sgpr_workgroup_id_x 1
		.amdhsa_system_sgpr_workgroup_id_y 0
		.amdhsa_system_sgpr_workgroup_id_z 0
		.amdhsa_system_sgpr_workgroup_info 0
		.amdhsa_system_vgpr_workitem_id 0
		.amdhsa_next_free_vgpr 256
		.amdhsa_next_free_sgpr 28
		.amdhsa_reserve_vcc 1
		.amdhsa_reserve_flat_scratch 0
		.amdhsa_float_round_mode_32 0
		.amdhsa_float_round_mode_16_64 0
		.amdhsa_float_denorm_mode_32 3
		.amdhsa_float_denorm_mode_16_64 3
		.amdhsa_dx10_clamp 1
		.amdhsa_ieee_mode 1
		.amdhsa_fp16_overflow 0
		.amdhsa_workgroup_processor_mode 1
		.amdhsa_memory_ordered 1
		.amdhsa_forward_progress 0
		.amdhsa_shared_vgpr_count 0
		.amdhsa_exception_fp_ieee_invalid_op 0
		.amdhsa_exception_fp_denorm_src 0
		.amdhsa_exception_fp_ieee_div_zero 0
		.amdhsa_exception_fp_ieee_overflow 0
		.amdhsa_exception_fp_ieee_underflow 0
		.amdhsa_exception_fp_ieee_inexact 0
		.amdhsa_exception_int_div_zero 0
	.end_amdhsa_kernel
	.text
.Lfunc_end0:
	.size	fft_rtc_back_len4050_factors_10_5_3_3_3_3_wgs_135_tpt_135_halfLds_dp_ip_CI_unitstride_sbrr_C2R_dirReg, .Lfunc_end0-fft_rtc_back_len4050_factors_10_5_3_3_3_3_wgs_135_tpt_135_halfLds_dp_ip_CI_unitstride_sbrr_C2R_dirReg
                                        ; -- End function
	.section	.AMDGPU.csdata,"",@progbits
; Kernel info:
; codeLenInByte = 30164
; NumSgprs: 30
; NumVgprs: 256
; ScratchSize: 104
; MemoryBound: 0
; FloatMode: 240
; IeeeMode: 1
; LDSByteSize: 0 bytes/workgroup (compile time only)
; SGPRBlocks: 3
; VGPRBlocks: 31
; NumSGPRsForWavesPerEU: 30
; NumVGPRsForWavesPerEU: 256
; Occupancy: 4
; WaveLimiterHint : 1
; COMPUTE_PGM_RSRC2:SCRATCH_EN: 1
; COMPUTE_PGM_RSRC2:USER_SGPR: 6
; COMPUTE_PGM_RSRC2:TRAP_HANDLER: 0
; COMPUTE_PGM_RSRC2:TGID_X_EN: 1
; COMPUTE_PGM_RSRC2:TGID_Y_EN: 0
; COMPUTE_PGM_RSRC2:TGID_Z_EN: 0
; COMPUTE_PGM_RSRC2:TIDIG_COMP_CNT: 0
	.text
	.p2alignl 6, 3214868480
	.fill 48, 4, 3214868480
	.type	__hip_cuid_3f21b405e080450a,@object ; @__hip_cuid_3f21b405e080450a
	.section	.bss,"aw",@nobits
	.globl	__hip_cuid_3f21b405e080450a
__hip_cuid_3f21b405e080450a:
	.byte	0                               ; 0x0
	.size	__hip_cuid_3f21b405e080450a, 1

	.ident	"AMD clang version 19.0.0git (https://github.com/RadeonOpenCompute/llvm-project roc-6.4.0 25133 c7fe45cf4b819c5991fe208aaa96edf142730f1d)"
	.section	".note.GNU-stack","",@progbits
	.addrsig
	.addrsig_sym __hip_cuid_3f21b405e080450a
	.amdgpu_metadata
---
amdhsa.kernels:
  - .args:
      - .actual_access:  read_only
        .address_space:  global
        .offset:         0
        .size:           8
        .value_kind:     global_buffer
      - .offset:         8
        .size:           8
        .value_kind:     by_value
      - .actual_access:  read_only
        .address_space:  global
        .offset:         16
        .size:           8
        .value_kind:     global_buffer
      - .actual_access:  read_only
        .address_space:  global
        .offset:         24
        .size:           8
        .value_kind:     global_buffer
      - .offset:         32
        .size:           8
        .value_kind:     by_value
      - .actual_access:  read_only
        .address_space:  global
        .offset:         40
        .size:           8
        .value_kind:     global_buffer
      - .actual_access:  read_only
        .address_space:  global
        .offset:         48
        .size:           8
        .value_kind:     global_buffer
      - .offset:         56
        .size:           4
        .value_kind:     by_value
      - .actual_access:  read_only
        .address_space:  global
        .offset:         64
        .size:           8
        .value_kind:     global_buffer
      - .actual_access:  read_only
        .address_space:  global
        .offset:         72
        .size:           8
        .value_kind:     global_buffer
      - .address_space:  global
        .offset:         80
        .size:           8
        .value_kind:     global_buffer
    .group_segment_fixed_size: 0
    .kernarg_segment_align: 8
    .kernarg_segment_size: 88
    .language:       OpenCL C
    .language_version:
      - 2
      - 0
    .max_flat_workgroup_size: 135
    .name:           fft_rtc_back_len4050_factors_10_5_3_3_3_3_wgs_135_tpt_135_halfLds_dp_ip_CI_unitstride_sbrr_C2R_dirReg
    .private_segment_fixed_size: 104
    .sgpr_count:     30
    .sgpr_spill_count: 0
    .symbol:         fft_rtc_back_len4050_factors_10_5_3_3_3_3_wgs_135_tpt_135_halfLds_dp_ip_CI_unitstride_sbrr_C2R_dirReg.kd
    .uniform_work_group_size: 1
    .uses_dynamic_stack: false
    .vgpr_count:     256
    .vgpr_spill_count: 36
    .wavefront_size: 32
    .workgroup_processor_mode: 1
amdhsa.target:   amdgcn-amd-amdhsa--gfx1030
amdhsa.version:
  - 1
  - 2
...

	.end_amdgpu_metadata
